;; amdgpu-corpus repo=ROCm/rocFFT kind=compiled arch=gfx1201 opt=O3
	.text
	.amdgcn_target "amdgcn-amd-amdhsa--gfx1201"
	.amdhsa_code_object_version 6
	.protected	fft_rtc_back_len468_factors_13_9_4_wgs_52_tpt_52_sp_op_CI_CI_unitstride_sbrr_R2C_dirReg ; -- Begin function fft_rtc_back_len468_factors_13_9_4_wgs_52_tpt_52_sp_op_CI_CI_unitstride_sbrr_R2C_dirReg
	.globl	fft_rtc_back_len468_factors_13_9_4_wgs_52_tpt_52_sp_op_CI_CI_unitstride_sbrr_R2C_dirReg
	.p2align	8
	.type	fft_rtc_back_len468_factors_13_9_4_wgs_52_tpt_52_sp_op_CI_CI_unitstride_sbrr_R2C_dirReg,@function
fft_rtc_back_len468_factors_13_9_4_wgs_52_tpt_52_sp_op_CI_CI_unitstride_sbrr_R2C_dirReg: ; @fft_rtc_back_len468_factors_13_9_4_wgs_52_tpt_52_sp_op_CI_CI_unitstride_sbrr_R2C_dirReg
; %bb.0:
	s_clause 0x2
	s_load_b128 s[8:11], s[0:1], 0x0
	s_load_b128 s[4:7], s[0:1], 0x58
	;; [unrolled: 1-line block ×3, first 2 shown]
	v_mul_u32_u24_e32 v1, 0x4ed, v0
	v_mov_b32_e32 v3, 0
	s_delay_alu instid0(VALU_DEP_2) | instskip(NEXT) | instid1(VALU_DEP_1)
	v_lshrrev_b32_e32 v1, 16, v1
	v_add_nc_u32_e32 v5, ttmp9, v1
	v_mov_b32_e32 v1, 0
	v_mov_b32_e32 v2, 0
	;; [unrolled: 1-line block ×3, first 2 shown]
	s_wait_kmcnt 0x0
	v_cmp_lt_u64_e64 s2, s[10:11], 2
	s_delay_alu instid0(VALU_DEP_1)
	s_and_b32 vcc_lo, exec_lo, s2
	s_cbranch_vccnz .LBB0_8
; %bb.1:
	s_load_b64 s[2:3], s[0:1], 0x10
	v_mov_b32_e32 v1, 0
	v_mov_b32_e32 v2, 0
	s_add_nc_u64 s[16:17], s[14:15], 8
	s_add_nc_u64 s[18:19], s[12:13], 8
	s_mov_b64 s[20:21], 1
	s_delay_alu instid0(VALU_DEP_1)
	v_dual_mov_b32 v33, v2 :: v_dual_mov_b32 v32, v1
	s_wait_kmcnt 0x0
	s_add_nc_u64 s[22:23], s[2:3], 8
	s_mov_b32 s3, 0
.LBB0_2:                                ; =>This Inner Loop Header: Depth=1
	s_load_b64 s[24:25], s[22:23], 0x0
                                        ; implicit-def: $vgpr36_vgpr37
	s_mov_b32 s2, exec_lo
	s_wait_kmcnt 0x0
	v_or_b32_e32 v4, s25, v6
	s_delay_alu instid0(VALU_DEP_1)
	v_cmpx_ne_u64_e32 0, v[3:4]
	s_wait_alu 0xfffe
	s_xor_b32 s26, exec_lo, s2
	s_cbranch_execz .LBB0_4
; %bb.3:                                ;   in Loop: Header=BB0_2 Depth=1
	s_cvt_f32_u32 s2, s24
	s_cvt_f32_u32 s27, s25
	s_sub_nc_u64 s[30:31], 0, s[24:25]
	s_wait_alu 0xfffe
	s_delay_alu instid0(SALU_CYCLE_1) | instskip(SKIP_1) | instid1(SALU_CYCLE_2)
	s_fmamk_f32 s2, s27, 0x4f800000, s2
	s_wait_alu 0xfffe
	v_s_rcp_f32 s2, s2
	s_delay_alu instid0(TRANS32_DEP_1) | instskip(SKIP_1) | instid1(SALU_CYCLE_2)
	s_mul_f32 s2, s2, 0x5f7ffffc
	s_wait_alu 0xfffe
	s_mul_f32 s27, s2, 0x2f800000
	s_wait_alu 0xfffe
	s_delay_alu instid0(SALU_CYCLE_2) | instskip(SKIP_1) | instid1(SALU_CYCLE_2)
	s_trunc_f32 s27, s27
	s_wait_alu 0xfffe
	s_fmamk_f32 s2, s27, 0xcf800000, s2
	s_cvt_u32_f32 s29, s27
	s_wait_alu 0xfffe
	s_delay_alu instid0(SALU_CYCLE_1) | instskip(SKIP_1) | instid1(SALU_CYCLE_2)
	s_cvt_u32_f32 s28, s2
	s_wait_alu 0xfffe
	s_mul_u64 s[34:35], s[30:31], s[28:29]
	s_wait_alu 0xfffe
	s_mul_hi_u32 s37, s28, s35
	s_mul_i32 s36, s28, s35
	s_mul_hi_u32 s2, s28, s34
	s_mul_i32 s33, s29, s34
	s_wait_alu 0xfffe
	s_add_nc_u64 s[36:37], s[2:3], s[36:37]
	s_mul_hi_u32 s27, s29, s34
	s_mul_hi_u32 s38, s29, s35
	s_add_co_u32 s2, s36, s33
	s_wait_alu 0xfffe
	s_add_co_ci_u32 s2, s37, s27
	s_mul_i32 s34, s29, s35
	s_add_co_ci_u32 s35, s38, 0
	s_wait_alu 0xfffe
	s_add_nc_u64 s[34:35], s[2:3], s[34:35]
	s_wait_alu 0xfffe
	v_add_co_u32 v4, s2, s28, s34
	s_delay_alu instid0(VALU_DEP_1) | instskip(SKIP_1) | instid1(VALU_DEP_1)
	s_cmp_lg_u32 s2, 0
	s_add_co_ci_u32 s29, s29, s35
	v_readfirstlane_b32 s28, v4
	s_wait_alu 0xfffe
	s_delay_alu instid0(VALU_DEP_1)
	s_mul_u64 s[30:31], s[30:31], s[28:29]
	s_wait_alu 0xfffe
	s_mul_hi_u32 s35, s28, s31
	s_mul_i32 s34, s28, s31
	s_mul_hi_u32 s2, s28, s30
	s_mul_i32 s33, s29, s30
	s_wait_alu 0xfffe
	s_add_nc_u64 s[34:35], s[2:3], s[34:35]
	s_mul_hi_u32 s27, s29, s30
	s_mul_hi_u32 s28, s29, s31
	s_wait_alu 0xfffe
	s_add_co_u32 s2, s34, s33
	s_add_co_ci_u32 s2, s35, s27
	s_mul_i32 s30, s29, s31
	s_add_co_ci_u32 s31, s28, 0
	s_wait_alu 0xfffe
	s_add_nc_u64 s[30:31], s[2:3], s[30:31]
	s_wait_alu 0xfffe
	v_add_co_u32 v4, s2, v4, s30
	s_delay_alu instid0(VALU_DEP_1) | instskip(SKIP_1) | instid1(VALU_DEP_1)
	s_cmp_lg_u32 s2, 0
	s_add_co_ci_u32 s2, s29, s31
	v_mul_hi_u32 v13, v5, v4
	s_wait_alu 0xfffe
	v_mad_co_u64_u32 v[7:8], null, v5, s2, 0
	v_mad_co_u64_u32 v[9:10], null, v6, v4, 0
	;; [unrolled: 1-line block ×3, first 2 shown]
	s_delay_alu instid0(VALU_DEP_3) | instskip(SKIP_1) | instid1(VALU_DEP_4)
	v_add_co_u32 v4, vcc_lo, v13, v7
	s_wait_alu 0xfffd
	v_add_co_ci_u32_e32 v7, vcc_lo, 0, v8, vcc_lo
	s_delay_alu instid0(VALU_DEP_2) | instskip(SKIP_1) | instid1(VALU_DEP_2)
	v_add_co_u32 v4, vcc_lo, v4, v9
	s_wait_alu 0xfffd
	v_add_co_ci_u32_e32 v4, vcc_lo, v7, v10, vcc_lo
	s_wait_alu 0xfffd
	v_add_co_ci_u32_e32 v7, vcc_lo, 0, v12, vcc_lo
	s_delay_alu instid0(VALU_DEP_2) | instskip(SKIP_1) | instid1(VALU_DEP_2)
	v_add_co_u32 v4, vcc_lo, v4, v11
	s_wait_alu 0xfffd
	v_add_co_ci_u32_e32 v9, vcc_lo, 0, v7, vcc_lo
	s_delay_alu instid0(VALU_DEP_2) | instskip(SKIP_1) | instid1(VALU_DEP_3)
	v_mul_lo_u32 v10, s25, v4
	v_mad_co_u64_u32 v[7:8], null, s24, v4, 0
	v_mul_lo_u32 v11, s24, v9
	s_delay_alu instid0(VALU_DEP_2) | instskip(NEXT) | instid1(VALU_DEP_2)
	v_sub_co_u32 v7, vcc_lo, v5, v7
	v_add3_u32 v8, v8, v11, v10
	s_delay_alu instid0(VALU_DEP_1) | instskip(SKIP_1) | instid1(VALU_DEP_1)
	v_sub_nc_u32_e32 v10, v6, v8
	s_wait_alu 0xfffd
	v_subrev_co_ci_u32_e64 v10, s2, s25, v10, vcc_lo
	v_add_co_u32 v11, s2, v4, 2
	s_wait_alu 0xf1ff
	v_add_co_ci_u32_e64 v12, s2, 0, v9, s2
	v_sub_co_u32 v13, s2, v7, s24
	v_sub_co_ci_u32_e32 v8, vcc_lo, v6, v8, vcc_lo
	s_wait_alu 0xf1ff
	v_subrev_co_ci_u32_e64 v10, s2, 0, v10, s2
	s_delay_alu instid0(VALU_DEP_3) | instskip(NEXT) | instid1(VALU_DEP_3)
	v_cmp_le_u32_e32 vcc_lo, s24, v13
	v_cmp_eq_u32_e64 s2, s25, v8
	s_wait_alu 0xfffd
	v_cndmask_b32_e64 v13, 0, -1, vcc_lo
	v_cmp_le_u32_e32 vcc_lo, s25, v10
	s_wait_alu 0xfffd
	v_cndmask_b32_e64 v14, 0, -1, vcc_lo
	v_cmp_le_u32_e32 vcc_lo, s24, v7
	;; [unrolled: 3-line block ×3, first 2 shown]
	s_wait_alu 0xfffd
	v_cndmask_b32_e64 v15, 0, -1, vcc_lo
	v_cmp_eq_u32_e32 vcc_lo, s25, v10
	s_wait_alu 0xf1ff
	s_delay_alu instid0(VALU_DEP_2)
	v_cndmask_b32_e64 v7, v15, v7, s2
	s_wait_alu 0xfffd
	v_cndmask_b32_e32 v10, v14, v13, vcc_lo
	v_add_co_u32 v13, vcc_lo, v4, 1
	s_wait_alu 0xfffd
	v_add_co_ci_u32_e32 v14, vcc_lo, 0, v9, vcc_lo
	s_delay_alu instid0(VALU_DEP_3) | instskip(SKIP_1) | instid1(VALU_DEP_2)
	v_cmp_ne_u32_e32 vcc_lo, 0, v10
	s_wait_alu 0xfffd
	v_cndmask_b32_e32 v8, v14, v12, vcc_lo
	v_cndmask_b32_e32 v10, v13, v11, vcc_lo
	v_cmp_ne_u32_e32 vcc_lo, 0, v7
	s_wait_alu 0xfffd
	s_delay_alu instid0(VALU_DEP_2)
	v_dual_cndmask_b32 v37, v9, v8 :: v_dual_cndmask_b32 v36, v4, v10
.LBB0_4:                                ;   in Loop: Header=BB0_2 Depth=1
	s_wait_alu 0xfffe
	s_and_not1_saveexec_b32 s2, s26
	s_cbranch_execz .LBB0_6
; %bb.5:                                ;   in Loop: Header=BB0_2 Depth=1
	v_cvt_f32_u32_e32 v4, s24
	s_sub_co_i32 s26, 0, s24
	v_mov_b32_e32 v37, v3
	s_delay_alu instid0(VALU_DEP_2) | instskip(NEXT) | instid1(TRANS32_DEP_1)
	v_rcp_iflag_f32_e32 v4, v4
	v_mul_f32_e32 v4, 0x4f7ffffe, v4
	s_delay_alu instid0(VALU_DEP_1) | instskip(SKIP_1) | instid1(VALU_DEP_1)
	v_cvt_u32_f32_e32 v4, v4
	s_wait_alu 0xfffe
	v_mul_lo_u32 v7, s26, v4
	s_delay_alu instid0(VALU_DEP_1) | instskip(NEXT) | instid1(VALU_DEP_1)
	v_mul_hi_u32 v7, v4, v7
	v_add_nc_u32_e32 v4, v4, v7
	s_delay_alu instid0(VALU_DEP_1) | instskip(NEXT) | instid1(VALU_DEP_1)
	v_mul_hi_u32 v4, v5, v4
	v_mul_lo_u32 v7, v4, s24
	v_add_nc_u32_e32 v8, 1, v4
	s_delay_alu instid0(VALU_DEP_2) | instskip(NEXT) | instid1(VALU_DEP_1)
	v_sub_nc_u32_e32 v7, v5, v7
	v_subrev_nc_u32_e32 v9, s24, v7
	v_cmp_le_u32_e32 vcc_lo, s24, v7
	s_wait_alu 0xfffd
	s_delay_alu instid0(VALU_DEP_2) | instskip(NEXT) | instid1(VALU_DEP_1)
	v_dual_cndmask_b32 v7, v7, v9 :: v_dual_cndmask_b32 v4, v4, v8
	v_cmp_le_u32_e32 vcc_lo, s24, v7
	s_delay_alu instid0(VALU_DEP_2) | instskip(SKIP_1) | instid1(VALU_DEP_1)
	v_add_nc_u32_e32 v8, 1, v4
	s_wait_alu 0xfffd
	v_cndmask_b32_e32 v36, v4, v8, vcc_lo
.LBB0_6:                                ;   in Loop: Header=BB0_2 Depth=1
	s_wait_alu 0xfffe
	s_or_b32 exec_lo, exec_lo, s2
	v_mul_lo_u32 v4, v37, s24
	s_delay_alu instid0(VALU_DEP_2)
	v_mul_lo_u32 v9, v36, s25
	s_load_b64 s[26:27], s[18:19], 0x0
	v_mad_co_u64_u32 v[7:8], null, v36, s24, 0
	s_load_b64 s[24:25], s[16:17], 0x0
	s_add_nc_u64 s[20:21], s[20:21], 1
	s_add_nc_u64 s[16:17], s[16:17], 8
	s_wait_alu 0xfffe
	v_cmp_ge_u64_e64 s2, s[20:21], s[10:11]
	s_add_nc_u64 s[18:19], s[18:19], 8
	s_add_nc_u64 s[22:23], s[22:23], 8
	v_add3_u32 v4, v8, v9, v4
	v_sub_co_u32 v5, vcc_lo, v5, v7
	s_wait_alu 0xfffd
	s_delay_alu instid0(VALU_DEP_2) | instskip(SKIP_2) | instid1(VALU_DEP_1)
	v_sub_co_ci_u32_e32 v4, vcc_lo, v6, v4, vcc_lo
	s_and_b32 vcc_lo, exec_lo, s2
	s_wait_kmcnt 0x0
	v_mul_lo_u32 v6, s26, v4
	v_mul_lo_u32 v7, s27, v5
	v_mad_co_u64_u32 v[1:2], null, s26, v5, v[1:2]
	v_mul_lo_u32 v4, s24, v4
	v_mul_lo_u32 v8, s25, v5
	v_mad_co_u64_u32 v[32:33], null, s24, v5, v[32:33]
	s_delay_alu instid0(VALU_DEP_4) | instskip(NEXT) | instid1(VALU_DEP_2)
	v_add3_u32 v2, v7, v2, v6
	v_add3_u32 v33, v8, v33, v4
	s_wait_alu 0xfffe
	s_cbranch_vccnz .LBB0_9
; %bb.7:                                ;   in Loop: Header=BB0_2 Depth=1
	v_dual_mov_b32 v5, v36 :: v_dual_mov_b32 v6, v37
	s_branch .LBB0_2
.LBB0_8:
	v_dual_mov_b32 v33, v2 :: v_dual_mov_b32 v32, v1
	v_dual_mov_b32 v37, v6 :: v_dual_mov_b32 v36, v5
.LBB0_9:
	s_load_b64 s[0:1], s[0:1], 0x28
	v_mul_hi_u32 v3, 0x4ec4ec5, v0
                                        ; implicit-def: $vgpr34
	s_wait_kmcnt 0x0
	s_delay_alu instid0(VALU_DEP_2) | instskip(SKIP_1) | instid1(VALU_DEP_1)
	v_cmp_gt_u64_e32 vcc_lo, s[0:1], v[36:37]
	v_cmp_le_u64_e64 s0, s[0:1], v[36:37]
	s_and_saveexec_b32 s1, s0
	s_wait_alu 0xfffe
	s_xor_b32 s0, exec_lo, s1
; %bb.10:
	s_delay_alu instid0(VALU_DEP_3) | instskip(NEXT) | instid1(VALU_DEP_1)
	v_mul_u32_u24_e32 v1, 52, v3
                                        ; implicit-def: $vgpr3
	v_sub_nc_u32_e32 v34, v0, v1
                                        ; implicit-def: $vgpr0
                                        ; implicit-def: $vgpr1_vgpr2
; %bb.11:
	s_wait_alu 0xfffe
	s_or_saveexec_b32 s1, s0
	s_lshl_b64 s[2:3], s[10:11], 3
	s_wait_alu 0xfffe
	s_xor_b32 exec_lo, exec_lo, s1
	s_cbranch_execz .LBB0_13
; %bb.12:
	s_add_nc_u64 s[10:11], s[12:13], s[2:3]
	v_lshlrev_b64_e32 v[1:2], 3, v[1:2]
	s_load_b64 s[10:11], s[10:11], 0x0
	s_wait_kmcnt 0x0
	v_mul_lo_u32 v6, s11, v36
	v_mul_lo_u32 v7, s10, v37
	v_mad_co_u64_u32 v[4:5], null, s10, v36, 0
	s_delay_alu instid0(VALU_DEP_1) | instskip(SKIP_1) | instid1(VALU_DEP_2)
	v_add3_u32 v5, v5, v7, v6
	v_mul_u32_u24_e32 v6, 52, v3
	v_lshlrev_b64_e32 v[3:4], 3, v[4:5]
	s_delay_alu instid0(VALU_DEP_2) | instskip(NEXT) | instid1(VALU_DEP_1)
	v_sub_nc_u32_e32 v34, v0, v6
	v_lshlrev_b32_e32 v18, 3, v34
	s_delay_alu instid0(VALU_DEP_3) | instskip(SKIP_1) | instid1(VALU_DEP_4)
	v_add_co_u32 v0, s0, s4, v3
	s_wait_alu 0xf1ff
	v_add_co_ci_u32_e64 v3, s0, s5, v4, s0
	s_delay_alu instid0(VALU_DEP_2) | instskip(SKIP_1) | instid1(VALU_DEP_2)
	v_add_co_u32 v0, s0, v0, v1
	s_wait_alu 0xf1ff
	v_add_co_ci_u32_e64 v1, s0, v3, v2, s0
	s_delay_alu instid0(VALU_DEP_2) | instskip(SKIP_1) | instid1(VALU_DEP_2)
	v_add_co_u32 v0, s0, v0, v18
	s_wait_alu 0xf1ff
	v_add_co_ci_u32_e64 v1, s0, 0, v1, s0
	s_clause 0x8
	global_load_b64 v[2:3], v[0:1], off
	global_load_b64 v[4:5], v[0:1], off offset:416
	global_load_b64 v[6:7], v[0:1], off offset:832
	global_load_b64 v[8:9], v[0:1], off offset:1248
	global_load_b64 v[10:11], v[0:1], off offset:1664
	global_load_b64 v[12:13], v[0:1], off offset:2080
	global_load_b64 v[14:15], v[0:1], off offset:2496
	global_load_b64 v[16:17], v[0:1], off offset:2912
	global_load_b64 v[0:1], v[0:1], off offset:3328
	v_add_nc_u32_e32 v18, 0, v18
	s_delay_alu instid0(VALU_DEP_1)
	v_add_nc_u32_e32 v19, 0x400, v18
	v_add_nc_u32_e32 v20, 0x800, v18
	s_wait_loadcnt 0x7
	ds_store_2addr_b64 v18, v[2:3], v[4:5] offset1:52
	s_wait_loadcnt 0x5
	ds_store_2addr_b64 v18, v[6:7], v[8:9] offset0:104 offset1:156
	s_wait_loadcnt 0x3
	ds_store_2addr_b64 v19, v[10:11], v[12:13] offset0:80 offset1:132
	;; [unrolled: 2-line block ×3, first 2 shown]
	s_wait_loadcnt 0x0
	ds_store_b64 v18, v[0:1] offset:3328
.LBB0_13:
	s_or_b32 exec_lo, exec_lo, s1
	v_lshl_add_u32 v38, v34, 3, 0
	global_wb scope:SCOPE_SE
	s_wait_dscnt 0x0
	s_barrier_signal -1
	s_barrier_wait -1
	global_inv scope:SCOPE_SE
	ds_load_2addr_b64 v[8:11], v38 offset1:36
	ds_load_b64 v[4:5], v38 offset:3456
	v_add_nc_u32_e32 v35, 0x800, v38
	s_add_nc_u64 s[2:3], s[14:15], s[2:3]
	s_mov_b32 s1, exec_lo
	s_wait_dscnt 0x0
	v_add_f32_e32 v54, v5, v11
	ds_load_2addr_b64 v[28:31], v38 offset0:72 offset1:108
	ds_load_2addr_b64 v[12:15], v35 offset0:104 offset1:140
	;; [unrolled: 1-line block ×4, first 2 shown]
	v_dual_sub_f32 v47, v11, v5 :: v_dual_sub_f32 v42, v10, v4
	v_add_f32_e32 v39, v4, v10
	v_mul_f32_e32 v62, 0x3f116cb1, v54
	v_mul_f32_e32 v87, 0xbeb58ec6, v54
	s_delay_alu instid0(VALU_DEP_4)
	v_mul_f32_e32 v58, 0xbf52af12, v47
	v_mul_f32_e32 v69, 0xbf7e222b, v47
	;; [unrolled: 1-line block ×3, first 2 shown]
	ds_load_2addr_b64 v[16:19], v35 offset0:32 offset1:68
	global_wb scope:SCOPE_SE
	s_wait_dscnt 0x0
	v_fma_f32 v0, 0x3f116cb1, v39, -v58
	s_barrier_signal -1
	s_barrier_wait -1
	global_inv scope:SCOPE_SE
	v_add_f32_e32 v0, v8, v0
	v_dual_sub_f32 v41, v28, v14 :: v_dual_add_f32 v40, v14, v28
	v_sub_f32_e32 v49, v29, v15
	v_fmamk_f32 v1, v42, 0xbf52af12, v62
	v_mul_f32_e32 v76, 0x3df6dbef, v54
	v_fma_f32 v2, 0x3df6dbef, v39, -v69
	v_add_f32_e32 v56, v15, v29
	v_fma_f32 v6, 0xbeb58ec6, v39, -v84
	v_add_f32_e32 v1, v9, v1
	s_delay_alu instid0(VALU_DEP_4) | instskip(SKIP_2) | instid1(VALU_DEP_3)
	v_dual_fmamk_f32 v3, v42, 0xbf7e222b, v76 :: v_dual_add_f32 v2, v8, v2
	v_mul_f32_e32 v72, 0xbe750f2a, v49
	v_dual_mul_f32 v88, 0x3f29c268, v49 :: v_dual_add_f32 v61, v13, v31
	v_add_f32_e32 v3, v9, v3
	v_dual_fmamk_f32 v7, v42, 0xbf6f5d39, v87 :: v_dual_add_f32 v6, v8, v6
	s_delay_alu instid0(VALU_DEP_4)
	v_fma_f32 v45, 0xbf788fa5, v40, -v72
	v_mul_f32_e32 v65, 0xbeb58ec6, v56
	v_fma_f32 v46, 0xbf3f9e67, v40, -v88
	v_sub_f32_e32 v53, v31, v13
	v_dual_mul_f32 v79, 0xbf788fa5, v56 :: v_dual_mul_f32 v70, 0xbf788fa5, v61
	v_dual_add_f32 v2, v45, v2 :: v_dual_mul_f32 v59, 0xbf6f5d39, v49
	v_fmamk_f32 v44, v41, 0xbf6f5d39, v65
	v_add_f32_e32 v6, v46, v6
	v_mul_f32_e32 v90, 0x3eedf032, v53
	v_add_f32_e32 v66, v19, v25
	v_fma_f32 v43, 0xbeb58ec6, v40, -v59
	v_add_f32_e32 v7, v9, v7
	v_dual_add_f32 v1, v44, v1 :: v_dual_sub_f32 v44, v30, v12
	s_delay_alu instid0(VALU_DEP_3) | instskip(SKIP_1) | instid1(VALU_DEP_3)
	v_dual_fmamk_f32 v45, v41, 0xbe750f2a, v79 :: v_dual_add_f32 v0, v43, v0
	v_add_f32_e32 v43, v12, v30
	v_dual_mul_f32 v63, 0xbe750f2a, v53 :: v_dual_fmamk_f32 v50, v44, 0xbe750f2a, v70
	s_delay_alu instid0(VALU_DEP_3) | instskip(SKIP_1) | instid1(VALU_DEP_3)
	v_add_f32_e32 v3, v45, v3
	v_dual_sub_f32 v57, v27, v17 :: v_dual_add_f32 v64, v17, v27
	v_fma_f32 v48, 0xbf788fa5, v43, -v63
	s_delay_alu instid0(VALU_DEP_4) | instskip(SKIP_1) | instid1(VALU_DEP_3)
	v_dual_add_f32 v1, v50, v1 :: v_dual_mul_f32 v74, 0xbf3f9e67, v66
	v_fma_f32 v50, 0x3f62ad3f, v43, -v90
	v_dual_sub_f32 v55, v25, v19 :: v_dual_add_f32 v0, v48, v0
	v_mul_f32_e32 v83, 0xbeb58ec6, v61
	s_delay_alu instid0(VALU_DEP_3) | instskip(NEXT) | instid1(VALU_DEP_3)
	v_dual_mul_f32 v75, 0x3f6f5d39, v53 :: v_dual_add_f32 v6, v50, v6
	v_mul_f32_e32 v68, 0x3f29c268, v55
	v_dual_mul_f32 v81, 0x3eedf032, v55 :: v_dual_sub_f32 v50, v26, v16
	s_delay_alu instid0(VALU_DEP_4) | instskip(NEXT) | instid1(VALU_DEP_4)
	v_fmamk_f32 v48, v44, 0x3f6f5d39, v83
	v_fma_f32 v46, 0xbeb58ec6, v43, -v75
	v_mul_f32_e32 v91, 0xbf3f9e67, v56
	v_mul_f32_e32 v85, 0x3f62ad3f, v66
	;; [unrolled: 1-line block ×3, first 2 shown]
	s_delay_alu instid0(VALU_DEP_4) | instskip(NEXT) | instid1(VALU_DEP_4)
	v_dual_mul_f32 v73, 0x3f7e222b, v57 :: v_dual_add_f32 v2, v46, v2
	v_dual_fmamk_f32 v45, v41, 0x3f29c268, v91 :: v_dual_sub_f32 v46, v24, v18
	v_add_f32_e32 v3, v48, v3
	v_add_f32_e32 v48, v16, v26
	s_delay_alu instid0(VALU_DEP_3) | instskip(SKIP_2) | instid1(VALU_DEP_4)
	v_dual_fmamk_f32 v82, v50, 0x3f7e222b, v77 :: v_dual_add_f32 v7, v45, v7
	v_add_f32_e32 v45, v18, v24
	v_mul_f32_e32 v86, 0x3f116cb1, v64
	v_fma_f32 v67, 0x3df6dbef, v48, -v73
	v_mul_f32_e32 v80, 0xbf52af12, v57
	s_delay_alu instid0(VALU_DEP_4) | instskip(SKIP_2) | instid1(VALU_DEP_4)
	v_fma_f32 v51, 0xbf3f9e67, v45, -v68
	v_fma_f32 v52, 0x3f62ad3f, v45, -v81
	v_fmamk_f32 v92, v50, 0xbf52af12, v86
	v_fma_f32 v89, 0x3f116cb1, v48, -v80
	s_delay_alu instid0(VALU_DEP_4) | instskip(NEXT) | instid1(VALU_DEP_4)
	v_dual_add_f32 v0, v51, v0 :: v_dual_fmamk_f32 v51, v46, 0x3f29c268, v74
	v_add_f32_e32 v2, v52, v2
	v_sub_f32_e32 v52, v20, v22
	s_delay_alu instid0(VALU_DEP_3) | instskip(NEXT) | instid1(VALU_DEP_4)
	v_add_f32_e32 v0, v67, v0
	v_dual_fmamk_f32 v60, v46, 0x3eedf032, v85 :: v_dual_add_f32 v1, v51, v1
	v_add_f32_e32 v67, v23, v21
	v_dual_add_f32 v51, v22, v20 :: v_dual_add_f32 v100, v89, v2
	s_delay_alu instid0(VALU_DEP_3) | instskip(SKIP_1) | instid1(VALU_DEP_4)
	v_add_f32_e32 v3, v60, v3
	v_sub_f32_e32 v60, v21, v23
	v_mul_f32_e32 v78, 0x3f62ad3f, v67
	v_mul_f32_e32 v98, 0x3f62ad3f, v61
	v_add_f32_e32 v1, v82, v1
	s_delay_alu instid0(VALU_DEP_4) | instskip(SKIP_1) | instid1(VALU_DEP_4)
	v_dual_add_f32 v101, v92, v3 :: v_dual_mul_f32 v82, 0xbf29c268, v60
	v_mul_f32_e32 v71, 0x3eedf032, v60
	v_fmamk_f32 v3, v44, 0x3eedf032, v98
	s_delay_alu instid0(VALU_DEP_2) | instskip(SKIP_1) | instid1(VALU_DEP_2)
	v_fma_f32 v93, 0x3f62ad3f, v51, -v71
	v_fmamk_f32 v99, v52, 0x3eedf032, v78
	v_dual_add_f32 v3, v3, v7 :: v_dual_add_f32 v2, v93, v0
	v_mul_f32_e32 v94, 0xbf7e222b, v55
	v_fma_f32 v0, 0xbf3f9e67, v51, -v82
	v_mul_f32_e32 v97, 0x3df6dbef, v66
	s_delay_alu instid0(VALU_DEP_3) | instskip(NEXT) | instid1(VALU_DEP_3)
	v_fma_f32 v7, 0x3df6dbef, v45, -v94
	v_add_f32_e32 v0, v0, v100
	s_delay_alu instid0(VALU_DEP_2) | instskip(NEXT) | instid1(VALU_DEP_1)
	v_dual_add_f32 v6, v7, v6 :: v_dual_mul_f32 v89, 0xbf3f9e67, v67
	v_fmamk_f32 v103, v52, 0xbf29c268, v89
	v_fmamk_f32 v92, v46, 0xbf7e222b, v97
	s_delay_alu instid0(VALU_DEP_1) | instskip(NEXT) | instid1(VALU_DEP_1)
	v_dual_mul_f32 v96, 0xbf788fa5, v64 :: v_dual_add_f32 v3, v92, v3
	v_dual_mul_f32 v93, 0x3e750f2a, v57 :: v_dual_fmamk_f32 v102, v50, 0x3e750f2a, v96
	v_mul_f32_e32 v92, 0x3f52af12, v60
	s_delay_alu instid0(VALU_DEP_2) | instskip(NEXT) | instid1(VALU_DEP_1)
	v_fma_f32 v7, 0xbf788fa5, v48, -v93
	v_dual_add_f32 v6, v7, v6 :: v_dual_add_f32 v7, v102, v3
	s_delay_alu instid0(VALU_DEP_3) | instskip(SKIP_2) | instid1(VALU_DEP_3)
	v_fma_f32 v102, 0x3f116cb1, v51, -v92
	v_mul_f32_e32 v95, 0x3f116cb1, v67
	v_add_f32_e32 v3, v99, v1
	v_dual_add_f32 v1, v103, v101 :: v_dual_add_f32 v6, v102, v6
	s_delay_alu instid0(VALU_DEP_3) | instskip(NEXT) | instid1(VALU_DEP_1)
	v_fmamk_f32 v104, v52, 0x3f52af12, v95
	v_add_f32_e32 v7, v104, v7
	v_cmpx_gt_u32_e32 36, v34
	s_cbranch_execz .LBB0_15
; %bb.14:
	v_dual_mul_f32 v99, 0xbf29c268, v42 :: v_dual_mul_f32 v102, 0xbf29c268, v47
	v_dual_mul_f32 v103, 0xbf52af12, v44 :: v_dual_mul_f32 v106, 0xbf52af12, v53
	;; [unrolled: 1-line block ×3, first 2 shown]
	s_delay_alu instid0(VALU_DEP_3) | instskip(NEXT) | instid1(VALU_DEP_4)
	v_fma_f32 v107, 0xbf3f9e67, v39, -v102
	v_fmamk_f32 v100, v54, 0xbf3f9e67, v99
	s_delay_alu instid0(VALU_DEP_4)
	v_fma_f32 v112, 0x3f116cb1, v43, -v106
	v_mul_f32_e32 v118, 0xbe750f2a, v47
	v_fma_f32 v113, 0xbf788fa5, v45, -v109
	v_add_f32_e32 v107, v8, v107
	v_dual_mul_f32 v101, 0x3f7e222b, v41 :: v_dual_add_f32 v100, v9, v100
	v_fma_f32 v99, 0xbf3f9e67, v54, -v99
	v_mul_f32_e32 v124, 0xbf29c268, v53
	v_fmac_f32_e32 v102, 0xbf3f9e67, v39
	s_delay_alu instid0(VALU_DEP_4) | instskip(SKIP_2) | instid1(VALU_DEP_4)
	v_fmamk_f32 v108, v56, 0x3df6dbef, v101
	v_mul_f32_e32 v105, 0x3f7e222b, v49
	v_dual_add_f32 v99, v9, v99 :: v_dual_mul_f32 v120, 0xbf3f9e67, v61
	v_dual_mul_f32 v115, 0xbf6f5d39, v60 :: v_dual_add_f32 v102, v8, v102
	s_delay_alu instid0(VALU_DEP_4) | instskip(NEXT) | instid1(VALU_DEP_4)
	v_add_f32_e32 v100, v108, v100
	v_fma_f32 v110, 0x3df6dbef, v40, -v105
	v_mul_f32_e32 v108, 0x3eedf032, v50
	v_fmac_f32_e32 v109, 0xbf788fa5, v45
	v_fmac_f32_e32 v106, 0x3f116cb1, v43
	;; [unrolled: 1-line block ×3, first 2 shown]
	v_add_f32_e32 v107, v110, v107
	v_fmamk_f32 v110, v66, 0xbf788fa5, v104
	v_fma_f32 v101, 0x3df6dbef, v56, -v101
	v_fma_f32 v125, 0xbeb58ec6, v51, -v115
	v_add_f32_e32 v10, v8, v10
	v_add_f32_e32 v107, v112, v107
	v_fmamk_f32 v111, v61, 0x3f116cb1, v103
	v_dual_mul_f32 v117, 0x3f62ad3f, v56 :: v_dual_add_f32 v102, v105, v102
	s_delay_alu instid0(VALU_DEP_3) | instskip(NEXT) | instid1(VALU_DEP_3)
	v_dual_add_f32 v10, v10, v28 :: v_dual_add_f32 v107, v113, v107
	v_dual_add_f32 v100, v111, v100 :: v_dual_mul_f32 v111, 0x3eedf032, v57
	v_fmamk_f32 v112, v64, 0x3f62ad3f, v108
	s_delay_alu instid0(VALU_DEP_4) | instskip(NEXT) | instid1(VALU_DEP_3)
	v_fmamk_f32 v119, v41, 0xbeedf032, v117
	v_dual_mul_f32 v121, 0x3eedf032, v49 :: v_dual_add_f32 v100, v110, v100
	s_delay_alu instid0(VALU_DEP_4) | instskip(SKIP_2) | instid1(VALU_DEP_4)
	v_fma_f32 v113, 0x3f62ad3f, v48, -v111
	v_mul_f32_e32 v110, 0xbf788fa5, v54
	v_fmac_f32_e32 v111, 0x3f62ad3f, v48
	v_fmamk_f32 v123, v40, 0x3f62ad3f, v121
	s_delay_alu instid0(VALU_DEP_4) | instskip(SKIP_4) | instid1(VALU_DEP_4)
	v_dual_add_f32 v100, v112, v100 :: v_dual_add_f32 v107, v113, v107
	v_fmamk_f32 v113, v39, 0xbf788fa5, v118
	v_mul_f32_e32 v114, 0xbf6f5d39, v52
	v_fma_f32 v108, 0x3f62ad3f, v64, -v108
	v_add_f32_e32 v10, v10, v30
	v_dual_mul_f32 v30, 0xbf788fa5, v67 :: v_dual_add_f32 v113, v8, v113
	v_fmamk_f32 v116, v42, 0x3e750f2a, v110
	v_dual_add_f32 v102, v106, v102 :: v_dual_add_f32 v11, v9, v11
	v_fmac_f32_e32 v117, 0x3eedf032, v41
	s_delay_alu instid0(VALU_DEP_4) | instskip(NEXT) | instid1(VALU_DEP_4)
	v_add_f32_e32 v113, v123, v113
	v_dual_fmamk_f32 v123, v43, 0xbf3f9e67, v124 :: v_dual_add_f32 v116, v9, v116
	s_delay_alu instid0(VALU_DEP_4) | instskip(SKIP_2) | instid1(VALU_DEP_4)
	v_add_f32_e32 v109, v109, v102
	v_add_f32_e32 v11, v11, v29
	v_mul_f32_e32 v29, 0xbeedf032, v47
	v_add_f32_e32 v113, v123, v113
	v_dual_add_f32 v116, v119, v116 :: v_dual_fmamk_f32 v119, v44, 0x3f29c268, v120
	v_mul_f32_e32 v126, 0x3f52af12, v55
	v_mul_f32_e32 v122, 0x3f116cb1, v66
	;; [unrolled: 1-line block ×3, first 2 shown]
	v_fmamk_f32 v112, v67, 0xbeb58ec6, v114
	v_add_f32_e32 v116, v119, v116
	v_add_f32_e32 v11, v11, v31
	v_fmamk_f32 v119, v46, 0xbf52af12, v122
	s_delay_alu instid0(VALU_DEP_4) | instskip(SKIP_1) | instid1(VALU_DEP_4)
	v_dual_fmamk_f32 v31, v39, 0x3f62ad3f, v29 :: v_dual_add_f32 v100, v112, v100
	v_mul_f32_e32 v47, 0xbf7e222b, v53
	v_add_f32_e32 v11, v11, v25
	s_delay_alu instid0(VALU_DEP_4) | instskip(NEXT) | instid1(VALU_DEP_4)
	v_dual_add_f32 v112, v119, v116 :: v_dual_fmamk_f32 v119, v45, 0x3f116cb1, v126
	v_dual_add_f32 v31, v8, v31 :: v_dual_fmac_f32 v120, 0xbf29c268, v44
	s_delay_alu instid0(VALU_DEP_3) | instskip(NEXT) | instid1(VALU_DEP_3)
	v_dual_add_f32 v27, v11, v27 :: v_dual_fmac_f32 v122, 0x3f52af12, v46
	v_add_f32_e32 v113, v119, v113
	v_dual_fmamk_f32 v119, v48, 0xbeb58ec6, v123 :: v_dual_mul_f32 v116, 0xbeb58ec6, v64
	s_delay_alu instid0(VALU_DEP_3) | instskip(NEXT) | instid1(VALU_DEP_2)
	v_dual_mul_f32 v64, 0xbf3f9e67, v64 :: v_dual_add_f32 v21, v27, v21
	v_add_f32_e32 v113, v119, v113
	s_delay_alu instid0(VALU_DEP_3) | instskip(SKIP_3) | instid1(VALU_DEP_4)
	v_fmamk_f32 v127, v50, 0x3f6f5d39, v116
	v_mul_f32_e32 v119, 0x3f7e222b, v60
	v_add_f32_e32 v99, v101, v99
	v_fma_f32 v101, 0x3f116cb1, v61, -v103
	v_dual_add_f32 v21, v21, v23 :: v_dual_add_f32 v112, v127, v112
	v_mul_f32_e32 v105, 0x3df6dbef, v67
	s_delay_alu instid0(VALU_DEP_3) | instskip(SKIP_2) | instid1(VALU_DEP_4)
	v_dual_fmamk_f32 v28, v50, 0x3f29c268, v64 :: v_dual_add_f32 v99, v101, v99
	v_fma_f32 v101, 0xbf788fa5, v66, -v104
	v_mul_f32_e32 v66, 0xbeb58ec6, v66
	v_fmamk_f32 v103, v52, 0xbf7e222b, v105
	v_add_f32_e32 v17, v21, v17
	s_delay_alu instid0(VALU_DEP_4) | instskip(SKIP_1) | instid1(VALU_DEP_4)
	v_dual_mul_f32 v21, 0xbf29c268, v57 :: v_dual_add_f32 v106, v101, v99
	v_dual_fmamk_f32 v104, v51, 0x3df6dbef, v119 :: v_dual_add_f32 v99, v125, v107
	v_add_f32_e32 v102, v103, v112
	v_fma_f32 v107, 0xbeb58ec6, v67, -v114
	s_delay_alu instid0(VALU_DEP_4) | instskip(NEXT) | instid1(VALU_DEP_4)
	v_dual_add_f32 v103, v108, v106 :: v_dual_mul_f32 v108, 0x3f29c268, v41
	v_dual_add_f32 v101, v104, v113 :: v_dual_mul_f32 v104, 0xbf6f5d39, v42
	;; [unrolled: 1-line block ×3, first 2 shown]
	s_delay_alu instid0(VALU_DEP_3) | instskip(SKIP_1) | instid1(VALU_DEP_4)
	v_sub_f32_e32 v91, v91, v108
	v_dual_add_f32 v10, v10, v24 :: v_dual_add_f32 v17, v17, v19
	v_sub_f32_e32 v87, v87, v104
	v_dual_add_f32 v104, v107, v103 :: v_dual_mul_f32 v107, 0xbf3f9e67, v40
	v_dual_fmac_f32 v115, 0xbeb58ec6, v51 :: v_dual_add_f32 v84, v109, v84
	s_delay_alu instid0(VALU_DEP_4) | instskip(SKIP_1) | instid1(VALU_DEP_4)
	v_add_f32_e32 v13, v17, v13
	v_mul_f32_e32 v24, 0xbf52af12, v49
	v_add_f32_e32 v88, v107, v88
	s_delay_alu instid0(VALU_DEP_4) | instskip(SKIP_3) | instid1(VALU_DEP_4)
	v_dual_add_f32 v103, v115, v106 :: v_dual_mul_f32 v106, 0x3eedf032, v44
	v_add_f32_e32 v84, v8, v84
	v_mul_f32_e32 v107, 0x3f6f5d39, v44
	v_add_f32_e32 v13, v13, v15
	v_dual_mul_f32 v19, 0xbe750f2a, v60 :: v_dual_sub_f32 v98, v98, v106
	v_mul_f32_e32 v106, 0x3f116cb1, v39
	v_dual_add_f32 v87, v9, v87 :: v_dual_add_f32 v84, v88, v84
	v_mul_f32_e32 v88, 0xbf7e222b, v46
	s_delay_alu instid0(VALU_DEP_4) | instskip(NEXT) | instid1(VALU_DEP_3)
	v_dual_add_f32 v10, v10, v26 :: v_dual_fmamk_f32 v17, v51, 0xbf788fa5, v19
	v_add_f32_e32 v87, v91, v87
	s_delay_alu instid0(VALU_DEP_3) | instskip(SKIP_1) | instid1(VALU_DEP_2)
	v_dual_mul_f32 v91, 0x3f62ad3f, v43 :: v_dual_sub_f32 v88, v97, v88
	v_dual_fmamk_f32 v26, v40, 0x3f116cb1, v24 :: v_dual_add_f32 v5, v13, v5
	v_dual_add_f32 v87, v98, v87 :: v_dual_add_f32 v90, v91, v90
	v_mul_f32_e32 v98, 0x3df6dbef, v45
	v_mul_f32_e32 v91, 0xbf52af12, v42
	;; [unrolled: 1-line block ×3, first 2 shown]
	v_fma_f32 v13, 0xbf788fa5, v39, -v118
	v_add_f32_e32 v84, v90, v84
	v_add_f32_e32 v94, v98, v94
	v_mul_f32_e32 v90, 0x3e750f2a, v50
	v_dual_mul_f32 v98, 0xbf7e222b, v42 :: v_dual_add_f32 v87, v88, v87
	s_delay_alu instid0(VALU_DEP_3) | instskip(NEXT) | instid1(VALU_DEP_3)
	v_dual_add_f32 v69, v97, v69 :: v_dual_add_f32 v84, v94, v84
	v_sub_f32_e32 v90, v96, v90
	v_mul_f32_e32 v88, 0xbf788fa5, v48
	v_mul_f32_e32 v94, 0x3f52af12, v52
	v_dual_mul_f32 v97, 0x3f62ad3f, v45 :: v_dual_sub_f32 v62, v62, v91
	s_delay_alu instid0(VALU_DEP_3) | instskip(NEXT) | instid1(VALU_DEP_3)
	v_dual_add_f32 v87, v90, v87 :: v_dual_add_f32 v88, v88, v93
	v_dual_sub_f32 v94, v95, v94 :: v_dual_mul_f32 v95, 0x3f116cb1, v51
	v_mul_f32_e32 v91, 0x3eedf032, v52
	v_dual_mul_f32 v96, 0xbeb58ec6, v40 :: v_dual_add_f32 v69, v8, v69
	s_delay_alu instid0(VALU_DEP_3)
	v_dual_mul_f32 v93, 0xbf6f5d39, v41 :: v_dual_add_f32 v92, v95, v92
	v_mul_f32_e32 v95, 0xbe750f2a, v44
	v_add_f32_e32 v84, v88, v84
	v_mul_f32_e32 v88, 0xbe750f2a, v41
	v_sub_f32_e32 v76, v76, v98
	v_dual_mul_f32 v98, 0xbf788fa5, v43 :: v_dual_sub_f32 v65, v65, v93
	v_fmamk_f32 v25, v52, 0x3e750f2a, v30
	s_delay_alu instid0(VALU_DEP_4) | instskip(NEXT) | instid1(VALU_DEP_4)
	v_sub_f32_e32 v79, v79, v88
	v_add_f32_e32 v76, v9, v76
	v_add_f32_e32 v88, v94, v87
	v_mul_f32_e32 v94, 0x3eedf032, v46
	v_mul_f32_e32 v90, 0xbf788fa5, v40
	v_dual_add_f32 v10, v10, v20 :: v_dual_add_f32 v13, v8, v13
	v_add_f32_e32 v76, v79, v76
	v_sub_f32_e32 v79, v83, v107
	v_mul_f32_e32 v83, 0x3f29c268, v46
	v_add_f32_e32 v87, v92, v84
	v_dual_sub_f32 v85, v85, v94 :: v_dual_add_f32 v72, v90, v72
	v_mul_f32_e32 v84, 0xbeb58ec6, v43
	v_add_f32_e32 v76, v79, v76
	v_mul_f32_e32 v79, 0x3df6dbef, v48
	s_delay_alu instid0(VALU_DEP_4) | instskip(NEXT) | instid1(VALU_DEP_4)
	v_dual_mul_f32 v90, 0x3f7e222b, v50 :: v_dual_add_f32 v69, v72, v69
	v_dual_mul_f32 v92, 0xbf3f9e67, v45 :: v_dual_add_f32 v75, v84, v75
	v_mul_f32_e32 v94, 0x3f116cb1, v48
	v_dual_add_f32 v62, v9, v62 :: v_dual_add_f32 v59, v96, v59
	v_dual_add_f32 v58, v106, v58 :: v_dual_add_f32 v73, v79, v73
	s_delay_alu instid0(VALU_DEP_4) | instskip(SKIP_4) | instid1(VALU_DEP_3)
	v_add_f32_e32 v69, v75, v69
	v_add_f32_e32 v75, v97, v81
	v_dual_add_f32 v76, v85, v76 :: v_dual_mul_f32 v85, 0xbf52af12, v50
	v_dual_add_f32 v62, v65, v62 :: v_dual_sub_f32 v65, v70, v95
	v_mul_f32_e32 v72, 0x3f62ad3f, v51
	v_dual_mul_f32 v84, 0xbf3f9e67, v51 :: v_dual_sub_f32 v85, v86, v85
	v_add_f32_e32 v69, v75, v69
	s_delay_alu instid0(VALU_DEP_4) | instskip(SKIP_1) | instid1(VALU_DEP_4)
	v_add_f32_e32 v65, v65, v62
	v_dual_add_f32 v75, v94, v80 :: v_dual_add_f32 v58, v8, v58
	v_add_f32_e32 v76, v85, v76
	v_sub_f32_e32 v74, v74, v83
	v_fma_f32 v15, 0x3f62ad3f, v40, -v121
	s_delay_alu instid0(VALU_DEP_4)
	v_add_f32_e32 v69, v75, v69
	v_dual_sub_f32 v75, v78, v91 :: v_dual_add_f32 v58, v59, v58
	v_add_f32_e32 v59, v98, v63
	v_dual_add_f32 v63, v84, v82 :: v_dual_mul_f32 v86, 0xbf29c268, v52
	v_add_f32_e32 v65, v74, v65
	v_dual_add_f32 v20, v26, v31 :: v_dual_fmac_f32 v105, 0x3f7e222b, v52
	s_delay_alu instid0(VALU_DEP_4) | instskip(NEXT) | instid1(VALU_DEP_4)
	v_add_f32_e32 v58, v59, v58
	v_dual_sub_f32 v70, v89, v86 :: v_dual_add_f32 v59, v92, v68
	v_dual_add_f32 v10, v10, v22 :: v_dual_add_f32 v13, v15, v13
	v_fma_f32 v15, 0xbf3f9e67, v43, -v124
	s_delay_alu instid0(VALU_DEP_3) | instskip(SKIP_4) | instid1(VALU_DEP_4)
	v_add_f32_e32 v62, v70, v76
	v_sub_f32_e32 v70, v77, v90
	v_add_f32_e32 v58, v59, v58
	v_fmac_f32_e32 v30, 0xbe750f2a, v52
	v_fmac_f32_e32 v116, 0xbf6f5d39, v50
	v_dual_fmac_f32 v64, 0xbf29c268, v50 :: v_dual_add_f32 v65, v70, v65
	v_mul_f32_e32 v54, 0x3f62ad3f, v54
	v_dual_add_f32 v58, v73, v58 :: v_dual_add_f32 v13, v15, v13
	v_fma_f32 v15, 0x3f116cb1, v45, -v126
	s_delay_alu instid0(VALU_DEP_3) | instskip(SKIP_2) | instid1(VALU_DEP_4)
	v_dual_add_f32 v59, v75, v65 :: v_dual_fmamk_f32 v74, v42, 0x3eedf032, v54
	v_fmamk_f32 v65, v46, 0x3f6f5d39, v66
	v_mul_f32_e32 v56, 0x3f116cb1, v56
	v_dual_add_f32 v10, v10, v16 :: v_dual_add_f32 v13, v15, v13
	s_delay_alu instid0(VALU_DEP_4) | instskip(SKIP_1) | instid1(VALU_DEP_4)
	v_add_f32_e32 v68, v9, v74
	v_mul_f32_e32 v74, 0x3df6dbef, v61
	v_dual_fmamk_f32 v70, v41, 0x3f52af12, v56 :: v_dual_add_f32 v61, v63, v69
	s_delay_alu instid0(VALU_DEP_4) | instskip(SKIP_2) | instid1(VALU_DEP_4)
	v_add_f32_e32 v10, v10, v18
	v_fmac_f32_e32 v54, 0xbeedf032, v42
	v_mul_f32_e32 v26, 0xbf6f5d39, v55
	v_add_f32_e32 v68, v70, v68
	v_fmamk_f32 v70, v44, 0x3f7e222b, v74
	v_fmac_f32_e32 v66, 0xbf6f5d39, v46
	v_fmac_f32_e32 v74, 0xbf7e222b, v44
	v_fmamk_f32 v18, v48, 0xbf3f9e67, v21
	v_fma_f32 v15, 0xbeb58ec6, v48, -v123
	v_dual_add_f32 v63, v70, v68 :: v_dual_add_f32 v68, v72, v71
	s_delay_alu instid0(VALU_DEP_2) | instskip(NEXT) | instid1(VALU_DEP_2)
	v_dual_add_f32 v10, v10, v12 :: v_dual_add_f32 v13, v15, v13
	v_dual_add_f32 v63, v65, v63 :: v_dual_fmac_f32 v56, 0xbf52af12, v41
	v_fmac_f32_e32 v110, 0xbe750f2a, v42
	s_delay_alu instid0(VALU_DEP_3) | instskip(SKIP_1) | instid1(VALU_DEP_4)
	v_add_f32_e32 v14, v10, v14
	v_fma_f32 v15, 0x3df6dbef, v51, -v119
	v_add_f32_e32 v28, v28, v63
	s_delay_alu instid0(VALU_DEP_4) | instskip(NEXT) | instid1(VALU_DEP_4)
	v_add_f32_e32 v16, v9, v110
	v_dual_add_f32 v9, v9, v54 :: v_dual_add_f32 v4, v14, v4
	s_delay_alu instid0(VALU_DEP_3) | instskip(SKIP_2) | instid1(VALU_DEP_4)
	v_add_f32_e32 v11, v25, v28
	v_fmamk_f32 v25, v43, 0x3df6dbef, v47
	v_fma_f32 v14, 0x3f62ad3f, v39, -v29
	v_add_f32_e32 v9, v56, v9
	v_add_f32_e32 v58, v68, v58
	v_fmamk_f32 v22, v45, 0xbeb58ec6, v26
	v_add_f32_e32 v20, v25, v20
	s_delay_alu instid0(VALU_DEP_4) | instskip(SKIP_1) | instid1(VALU_DEP_3)
	v_dual_add_f32 v8, v8, v14 :: v_dual_add_f32 v9, v74, v9
	v_fma_f32 v14, 0x3f116cb1, v40, -v24
	v_add_f32_e32 v20, v22, v20
	s_delay_alu instid0(VALU_DEP_3) | instskip(NEXT) | instid1(VALU_DEP_3)
	v_dual_add_f32 v9, v66, v9 :: v_dual_add_f32 v16, v117, v16
	v_add_f32_e32 v8, v14, v8
	v_fma_f32 v14, 0x3df6dbef, v43, -v47
	s_delay_alu instid0(VALU_DEP_3) | instskip(SKIP_1) | instid1(VALU_DEP_3)
	v_add_f32_e32 v12, v120, v16
	v_add_f32_e32 v16, v18, v20
	;; [unrolled: 1-line block ×3, first 2 shown]
	v_fma_f32 v14, 0xbeb58ec6, v45, -v26
	v_mad_u32_u24 v18, 0x60, v34, v38
	v_add_f32_e32 v12, v122, v12
	v_add_f32_e32 v10, v17, v16
	;; [unrolled: 1-line block ×4, first 2 shown]
	v_fma_f32 v14, 0xbf3f9e67, v48, -v21
	v_add_f32_e32 v12, v116, v12
	v_fma_f32 v17, 0xbf788fa5, v51, -v19
	s_delay_alu instid0(VALU_DEP_3) | instskip(NEXT) | instid1(VALU_DEP_3)
	v_add_f32_e32 v14, v14, v8
	v_dual_add_f32 v9, v105, v12 :: v_dual_add_f32 v8, v15, v13
	s_delay_alu instid0(VALU_DEP_2)
	v_dual_add_f32 v13, v30, v16 :: v_dual_add_f32 v12, v17, v14
	ds_store_2addr_b64 v18, v[4:5], v[10:11] offset1:1
	ds_store_2addr_b64 v18, v[58:59], v[61:62] offset0:2 offset1:3
	ds_store_2addr_b64 v18, v[87:88], v[103:104] offset0:4 offset1:5
	;; [unrolled: 1-line block ×5, first 2 shown]
	ds_store_b64 v18, v[12:13] offset:96
.LBB0_15:
	s_wait_alu 0xfffe
	s_or_b32 exec_lo, exec_lo, s1
	v_and_b32_e32 v4, 0xff, v34
	s_load_b64 s[2:3], s[2:3], 0x0
	global_wb scope:SCOPE_SE
	s_wait_dscnt 0x0
	s_wait_kmcnt 0x0
	s_barrier_signal -1
	s_barrier_wait -1
	v_mul_lo_u16 v4, 0x4f, v4
	global_inv scope:SCOPE_SE
	v_cmp_gt_u32_e64 s0, 13, v34
	v_lshrrev_b16 v4, 10, v4
	s_delay_alu instid0(VALU_DEP_1) | instskip(NEXT) | instid1(VALU_DEP_1)
	v_mul_lo_u16 v5, v4, 13
	v_sub_nc_u16 v5, v34, v5
	s_delay_alu instid0(VALU_DEP_1) | instskip(NEXT) | instid1(VALU_DEP_1)
	v_and_b32_e32 v29, 0xff, v5
	v_lshlrev_b32_e32 v5, 6, v29
	s_clause 0x3
	global_load_b128 v[8:11], v5, s[8:9]
	global_load_b128 v[12:15], v5, s[8:9] offset:16
	global_load_b128 v[16:19], v5, s[8:9] offset:32
	;; [unrolled: 1-line block ×3, first 2 shown]
	v_add_nc_u32_e32 v24, 0x400, v38
	ds_load_2addr_b64 v[25:28], v38 offset1:52
	ds_load_2addr_b64 v[39:42], v38 offset0:104 offset1:156
	ds_load_2addr_b64 v[43:46], v24 offset0:80 offset1:132
	v_and_b32_e32 v30, 0xffff, v4
	ds_load_2addr_b64 v[47:50], v35 offset0:56 offset1:108
	ds_load_b64 v[4:5], v38 offset:3328
	v_lshlrev_b32_e32 v29, 3, v29
	global_wb scope:SCOPE_SE
	s_wait_loadcnt_dscnt 0x0
	s_barrier_signal -1
	s_barrier_wait -1
	global_inv scope:SCOPE_SE
	v_mul_f32_e32 v31, v11, v40
	v_mul_f32_e32 v11, v11, v39
	;; [unrolled: 1-line block ×3, first 2 shown]
	v_mul_u32_u24_e32 v30, 0x3a8, v30
	v_dual_mul_f32 v52, v15, v44 :: v_dual_mul_f32 v55, v50, v21
	v_mul_f32_e32 v56, v5, v23
	v_mul_f32_e32 v15, v15, v43
	s_delay_alu instid0(VALU_DEP_4) | instskip(SKIP_1) | instid1(VALU_DEP_4)
	v_add3_u32 v29, 0, v30, v29
	v_mul_f32_e32 v30, v9, v28
	v_dual_mul_f32 v9, v9, v27 :: v_dual_fmac_f32 v56, v4, v22
	v_mul_f32_e32 v51, v13, v42
	v_dual_mul_f32 v13, v13, v41 :: v_dual_fmac_f32 v52, v14, v43
	s_delay_alu instid0(VALU_DEP_4)
	v_dual_fmac_f32 v30, v8, v27 :: v_dual_mul_f32 v53, v17, v46
	v_dual_mul_f32 v17, v17, v45 :: v_dual_fmac_f32 v54, v47, v18
	v_fma_f32 v8, v8, v28, -v9
	v_fma_f32 v9, v10, v40, -v11
	;; [unrolled: 1-line block ×3, first 2 shown]
	v_fmac_f32_e32 v51, v12, v41
	v_mul_f32_e32 v23, v4, v23
	v_dual_mul_f32 v19, v47, v19 :: v_dual_add_f32 v14, v30, v56
	s_delay_alu instid0(VALU_DEP_2) | instskip(SKIP_4) | instid1(VALU_DEP_2)
	v_fma_f32 v4, v5, v22, -v23
	v_fmac_f32_e32 v31, v10, v39
	v_fma_f32 v10, v12, v42, -v13
	v_fma_f32 v12, v16, v46, -v17
	v_fmac_f32_e32 v55, v49, v20
	v_sub_f32_e32 v23, v11, v12
	v_add_f32_e32 v15, v8, v4
	v_dual_sub_f32 v4, v8, v4 :: v_dual_mul_f32 v21, v49, v21
	v_dual_add_f32 v28, v11, v12 :: v_dual_fmac_f32 v53, v16, v45
	v_sub_f32_e32 v22, v51, v54
	v_add_f32_e32 v16, v31, v55
	s_delay_alu instid0(VALU_DEP_4) | instskip(SKIP_3) | instid1(VALU_DEP_4)
	v_fma_f32 v5, v50, v20, -v21
	v_sub_f32_e32 v20, v30, v56
	v_fma_f32 v13, v48, v18, -v19
	v_add_f32_e32 v18, v51, v54
	v_dual_fmamk_f32 v44, v28, 0x3f441b7d, v26 :: v_dual_add_f32 v17, v9, v5
	s_delay_alu instid0(VALU_DEP_4) | instskip(SKIP_1) | instid1(VALU_DEP_4)
	v_mul_f32_e32 v30, 0x3f248dbb, v20
	v_fmamk_f32 v39, v14, 0x3f441b7d, v25
	v_add_f32_e32 v8, v18, v25
	v_dual_add_f32 v27, v52, v53 :: v_dual_mul_f32 v50, 0x3f7c1c5c, v23
	v_dual_mul_f32 v42, 0xbf248dbb, v23 :: v_dual_add_f32 v19, v10, v13
	v_fmamk_f32 v40, v15, 0x3f441b7d, v26
	v_sub_f32_e32 v10, v10, v13
	v_dual_sub_f32 v13, v52, v53 :: v_dual_add_f32 v48, v17, v15
	v_dual_sub_f32 v5, v9, v5 :: v_dual_add_f32 v46, v23, v4
	s_delay_alu instid0(VALU_DEP_4) | instskip(SKIP_2) | instid1(VALU_DEP_4)
	v_dual_add_f32 v9, v19, v26 :: v_dual_fmac_f32 v40, 0x3e31d0d4, v17
	v_fmamk_f32 v43, v27, 0x3f441b7d, v25
	v_sub_f32_e32 v21, v31, v55
	v_dual_mul_f32 v31, 0x3f248dbb, v4 :: v_dual_sub_f32 v46, v46, v5
	v_add_f32_e32 v45, v13, v20
	v_dual_add_f32 v47, v16, v14 :: v_dual_fmac_f32 v42, 0x3f7c1c5c, v4
	v_fmamk_f32 v54, v17, 0x3f441b7d, v26
	v_dual_fmac_f32 v40, -0.5, v19 :: v_dual_fmac_f32 v43, 0x3e31d0d4, v14
	v_dual_mul_f32 v41, 0xbf248dbb, v13 :: v_dual_add_f32 v56, v28, v48
	v_dual_mul_f32 v49, 0x3f7c1c5c, v13 :: v_dual_add_f32 v48, v19, v48
	v_fmac_f32_e32 v30, 0x3f7c1c5c, v21
	v_dual_fmac_f32 v39, 0x3e31d0d4, v16 :: v_dual_fmac_f32 v44, 0x3e31d0d4, v15
	v_fmamk_f32 v51, v16, 0x3f441b7d, v25
	s_delay_alu instid0(VALU_DEP_3)
	v_dual_sub_f32 v45, v45, v21 :: v_dual_fmac_f32 v30, 0x3f5db3d7, v22
	v_dual_add_f32 v55, v27, v47 :: v_dual_fmac_f32 v42, 0xbf5db3d7, v10
	v_fmac_f32_e32 v31, 0x3f7c1c5c, v5
	v_fma_f32 v50, 0xbf248dbb, v5, -v50
	v_dual_add_f32 v47, v18, v47 :: v_dual_mul_f32 v58, 0x3f5db3d7, v46
	v_dual_fmac_f32 v54, 0x3e31d0d4, v28 :: v_dual_fmac_f32 v43, -0.5, v18
	v_fmac_f32_e32 v40, 0xbf708fb2, v28
	v_fmac_f32_e32 v41, 0x3f7c1c5c, v20
	v_fma_f32 v49, 0xbf248dbb, v21, -v49
	v_dual_fmac_f32 v44, -0.5, v19 :: v_dual_mul_f32 v57, 0x3f5db3d7, v45
	v_fmac_f32_e32 v50, 0x3f5db3d7, v10
	v_dual_fmac_f32 v8, -0.5, v55 :: v_dual_fmac_f32 v31, 0x3f5db3d7, v10
	v_fmac_f32_e32 v54, -0.5, v19
	v_add_f32_e32 v10, v52, v47
	v_fmac_f32_e32 v51, 0x3e31d0d4, v27
	v_dual_fmac_f32 v39, -0.5, v18 :: v_dual_fmac_f32 v30, 0x3eaf1d44, v13
	v_dual_fmac_f32 v9, -0.5, v56 :: v_dual_fmac_f32 v42, 0x3eaf1d44, v5
	v_dual_add_f32 v11, v11, v48 :: v_dual_fmac_f32 v44, 0xbf708fb2, v17
	v_fmac_f32_e32 v43, 0xbf708fb2, v16
	v_dual_fmac_f32 v31, 0x3eaf1d44, v23 :: v_dual_fmac_f32 v50, 0x3eaf1d44, v4
	v_add_f32_e32 v4, v53, v10
	v_fmac_f32_e32 v49, 0x3f5db3d7, v22
	v_dual_fmac_f32 v51, -0.5, v18 :: v_dual_fmac_f32 v54, 0xbf708fb2, v15
	v_fmac_f32_e32 v39, 0xbf708fb2, v27
	v_dual_fmac_f32 v8, 0xbf5db3d7, v46 :: v_dual_add_f32 v5, v12, v11
	v_sub_f32_e32 v12, v43, v42
	s_delay_alu instid0(VALU_DEP_3) | instskip(SKIP_2) | instid1(VALU_DEP_3)
	v_dual_fmac_f32 v41, 0xbf5db3d7, v22 :: v_dual_sub_f32 v10, v39, v31
	v_dual_fmac_f32 v51, 0xbf708fb2, v14 :: v_dual_add_f32 v16, v25, v4
	v_fmac_f32_e32 v49, 0x3eaf1d44, v20
	v_fmac_f32_e32 v41, 0x3eaf1d44, v21
	s_delay_alu instid0(VALU_DEP_3) | instskip(SKIP_1) | instid1(VALU_DEP_4)
	v_dual_fmac_f32 v9, 0x3f5db3d7, v45 :: v_dual_sub_f32 v18, v51, v50
	v_add_f32_e32 v11, v30, v40
	v_add_f32_e32 v19, v49, v54
	s_delay_alu instid0(VALU_DEP_4)
	v_add_f32_e32 v13, v41, v44
	v_add_f32_e32 v17, v26, v5
	v_fma_f32 v22, 2.0, v50, v18
	v_fma_f32 v14, 2.0, v58, v8
	v_fma_f32 v23, -2.0, v49, v19
	v_fma_f32 v15, -2.0, v57, v9
	v_fma_f32 v20, 2.0, v42, v12
	v_fma_f32 v21, -2.0, v41, v13
	v_fma_f32 v4, 2.0, v31, v10
	v_fma_f32 v5, -2.0, v30, v11
	ds_store_2addr_b64 v29, v[16:17], v[10:11] offset1:13
	ds_store_2addr_b64 v29, v[12:13], v[8:9] offset0:26 offset1:39
	ds_store_2addr_b64 v29, v[18:19], v[22:23] offset0:52 offset1:65
	;; [unrolled: 1-line block ×3, first 2 shown]
	ds_store_b64 v29, v[4:5] offset:832
	global_wb scope:SCOPE_SE
	s_wait_dscnt 0x0
	s_barrier_signal -1
	s_barrier_wait -1
	global_inv scope:SCOPE_SE
	ds_load_2addr_b64 v[8:11], v38 offset1:52
	ds_load_2addr_b64 v[12:15], v38 offset0:117 offset1:169
	ds_load_2addr_b64 v[16:19], v24 offset0:106 offset1:158
	;; [unrolled: 1-line block ×3, first 2 shown]
	s_and_saveexec_b32 s1, s0
	s_cbranch_execz .LBB0_17
; %bb.16:
	v_add_nc_u32_e32 v0, 0x800, v38
	ds_load_2addr_b64 v[4:7], v38 offset0:104 offset1:221
	ds_load_2addr_b64 v[0:3], v0 offset0:82 offset1:199
.LBB0_17:
	s_wait_alu 0xfffe
	s_or_b32 exec_lo, exec_lo, s1
	v_mul_u32_u24_e32 v25, 3, v34
	s_delay_alu instid0(VALU_DEP_1)
	v_lshlrev_b32_e32 v25, 3, v25
	s_clause 0x3
	global_load_b128 v[26:29], v25, s[8:9] offset:832
	global_load_b64 v[30:31], v25, s[8:9] offset:848
	global_load_b128 v[39:42], v25, s[8:9] offset:2080
	global_load_b64 v[43:44], v25, s[8:9] offset:2096
	v_add_nc_u32_e32 v25, 0x800, v38
	global_wb scope:SCOPE_SE
	s_wait_loadcnt_dscnt 0x0
	s_barrier_signal -1
	s_barrier_wait -1
	global_inv scope:SCOPE_SE
	v_mul_f32_e32 v35, v27, v13
	v_dual_mul_f32 v27, v27, v12 :: v_dual_mul_f32 v48, v42, v19
	v_dual_mul_f32 v42, v42, v18 :: v_dual_mul_f32 v45, v29, v17
	v_mul_f32_e32 v46, v31, v21
	s_delay_alu instid0(VALU_DEP_3) | instskip(SKIP_2) | instid1(VALU_DEP_4)
	v_dual_mul_f32 v31, v31, v20 :: v_dual_fmac_f32 v48, v41, v18
	v_mul_f32_e32 v47, v40, v15
	v_mul_f32_e32 v40, v40, v14
	v_dual_fmac_f32 v46, v30, v20 :: v_dual_mul_f32 v49, v44, v23
	s_delay_alu instid0(VALU_DEP_4)
	v_sub_f32_e32 v20, v10, v48
	v_dual_mul_f32 v44, v44, v22 :: v_dual_fmac_f32 v35, v26, v12
	v_fma_f32 v12, v26, v13, -v27
	v_fmac_f32_e32 v45, v28, v16
	v_mul_f32_e32 v29, v29, v16
	v_fma_f32 v16, v30, v21, -v31
	v_fmac_f32_e32 v47, v39, v14
	v_fma_f32 v14, v39, v15, -v40
	v_fma_f32 v15, v41, v19, -v42
	v_sub_f32_e32 v18, v8, v45
	v_sub_f32_e32 v16, v12, v16
	v_fma_f32 v13, v28, v17, -v29
	v_fmac_f32_e32 v49, v43, v22
	v_fma_f32 v17, v43, v23, -v44
	v_sub_f32_e32 v21, v11, v15
	v_fma_f32 v22, v8, 2.0, -v18
	s_delay_alu instid0(VALU_DEP_4) | instskip(NEXT) | instid1(VALU_DEP_4)
	v_dual_add_f32 v8, v18, v16 :: v_dual_sub_f32 v15, v47, v49
	v_sub_f32_e32 v17, v14, v17
	v_fma_f32 v27, v12, 2.0, -v16
	v_fma_f32 v28, v10, 2.0, -v20
	;; [unrolled: 1-line block ×4, first 2 shown]
	v_sub_f32_e32 v19, v9, v13
	v_dual_add_f32 v10, v20, v17 :: v_dual_sub_f32 v13, v35, v46
	v_fma_f32 v30, v14, 2.0, -v17
	s_delay_alu instid0(VALU_DEP_4) | instskip(NEXT) | instid1(VALU_DEP_4)
	v_sub_f32_e32 v16, v28, v16
	v_fma_f32 v23, v9, 2.0, -v19
	v_sub_f32_e32 v11, v21, v15
	v_fma_f32 v26, v35, 2.0, -v13
	v_sub_f32_e32 v9, v19, v13
	v_sub_f32_e32 v17, v29, v30
	;; [unrolled: 1-line block ×3, first 2 shown]
	v_fma_f32 v14, v18, 2.0, -v8
	v_sub_f32_e32 v12, v22, v26
	v_fma_f32 v15, v19, 2.0, -v9
	v_fma_f32 v18, v20, 2.0, -v10
	;; [unrolled: 1-line block ×7, first 2 shown]
	ds_store_2addr_b64 v38, v[14:15], v[18:19] offset0:117 offset1:169
	ds_store_2addr_b64 v24, v[12:13], v[16:17] offset0:106 offset1:158
	ds_store_2addr_b64 v38, v[20:21], v[22:23] offset1:52
	ds_store_2addr_b64 v25, v[8:9], v[10:11] offset0:95 offset1:147
	s_and_saveexec_b32 s1, s0
	s_cbranch_execz .LBB0_19
; %bb.18:
	v_add_nc_u32_e32 v8, 0x68, v34
	v_add_nc_u32_e32 v9, -13, v34
	s_delay_alu instid0(VALU_DEP_1) | instskip(SKIP_1) | instid1(VALU_DEP_2)
	v_cndmask_b32_e64 v8, v9, v8, s0
	v_mov_b32_e32 v9, 0
	v_mul_i32_i24_e32 v8, 3, v8
	s_delay_alu instid0(VALU_DEP_1) | instskip(NEXT) | instid1(VALU_DEP_1)
	v_lshlrev_b64_e32 v[8:9], 3, v[8:9]
	v_add_co_u32 v12, s0, s8, v8
	s_wait_alu 0xf1ff
	s_delay_alu instid0(VALU_DEP_2)
	v_add_co_ci_u32_e64 v13, s0, s9, v9, s0
	s_clause 0x1
	global_load_b128 v[8:11], v[12:13], off offset:832
	global_load_b64 v[12:13], v[12:13], off offset:848
	s_wait_loadcnt 0x1
	v_mul_f32_e32 v14, v0, v11
	s_wait_loadcnt 0x0
	v_dual_mul_f32 v16, v3, v13 :: v_dual_mul_f32 v11, v1, v11
	v_mul_f32_e32 v15, v7, v9
	s_delay_alu instid0(VALU_DEP_3) | instskip(NEXT) | instid1(VALU_DEP_3)
	v_fma_f32 v1, v1, v10, -v14
	v_dual_fmac_f32 v16, v2, v12 :: v_dual_fmac_f32 v11, v0, v10
	v_mul_f32_e32 v9, v6, v9
	s_delay_alu instid0(VALU_DEP_4) | instskip(NEXT) | instid1(VALU_DEP_2)
	v_fmac_f32_e32 v15, v6, v8
	v_fma_f32 v6, v7, v8, -v9
	s_delay_alu instid0(VALU_DEP_4) | instskip(NEXT) | instid1(VALU_DEP_1)
	v_dual_sub_f32 v8, v4, v11 :: v_dual_mul_f32 v13, v2, v13
	v_fma_f32 v3, v3, v12, -v13
	s_delay_alu instid0(VALU_DEP_1) | instskip(NEXT) | instid1(VALU_DEP_1)
	v_sub_f32_e32 v0, v6, v3
	v_fma_f32 v2, v6, 2.0, -v0
	s_delay_alu instid0(VALU_DEP_4) | instskip(SKIP_3) | instid1(VALU_DEP_2)
	v_add_f32_e32 v0, v8, v0
	v_fma_f32 v6, v4, 2.0, -v8
	v_sub_f32_e32 v7, v5, v1
	v_sub_f32_e32 v1, v15, v16
	v_fma_f32 v9, v5, 2.0, -v7
	s_delay_alu instid0(VALU_DEP_2) | instskip(NEXT) | instid1(VALU_DEP_1)
	v_fma_f32 v4, v15, 2.0, -v1
	v_dual_sub_f32 v3, v9, v2 :: v_dual_sub_f32 v2, v6, v4
	v_sub_f32_e32 v1, v7, v1
	v_fma_f32 v4, v8, 2.0, -v0
	s_delay_alu instid0(VALU_DEP_3) | instskip(NEXT) | instid1(VALU_DEP_3)
	v_fma_f32 v6, v6, 2.0, -v2
	v_fma_f32 v5, v7, 2.0, -v1
	;; [unrolled: 1-line block ×3, first 2 shown]
	ds_store_2addr_b64 v38, v[6:7], v[4:5] offset0:104 offset1:221
	ds_store_2addr_b64 v25, v[2:3], v[0:1] offset0:82 offset1:199
.LBB0_19:
	s_wait_alu 0xfffe
	s_or_b32 exec_lo, exec_lo, s1
	global_wb scope:SCOPE_SE
	s_wait_dscnt 0x0
	s_barrier_signal -1
	s_barrier_wait -1
	global_inv scope:SCOPE_SE
	ds_load_b64 v[0:1], v38
	v_lshlrev_b32_e32 v2, 3, v34
	s_mov_b32 s1, exec_lo
                                        ; implicit-def: $vgpr3
                                        ; implicit-def: $vgpr7
                                        ; implicit-def: $vgpr4_vgpr5
	s_delay_alu instid0(VALU_DEP_1)
	v_sub_nc_u32_e32 v6, 0, v2
	v_cmpx_ne_u32_e32 0, v34
	s_wait_alu 0xfffe
	s_xor_b32 s1, exec_lo, s1
	s_cbranch_execz .LBB0_21
; %bb.20:
	ds_load_b64 v[7:8], v6 offset:3744
	v_mov_b32_e32 v35, 0
	s_delay_alu instid0(VALU_DEP_1) | instskip(NEXT) | instid1(VALU_DEP_1)
	v_lshlrev_b64_e32 v[2:3], 3, v[34:35]
	v_add_co_u32 v2, s0, s8, v2
	s_wait_alu 0xf1ff
	s_delay_alu instid0(VALU_DEP_2) | instskip(SKIP_4) | instid1(VALU_DEP_2)
	v_add_co_ci_u32_e64 v3, s0, s9, v3, s0
	global_load_b64 v[3:4], v[2:3], off offset:3640
	s_wait_dscnt 0x0
	v_sub_f32_e32 v2, v0, v7
	v_add_f32_e32 v5, v8, v1
	v_dual_sub_f32 v1, v1, v8 :: v_dual_mul_f32 v8, 0.5, v2
	s_delay_alu instid0(VALU_DEP_2) | instskip(NEXT) | instid1(VALU_DEP_2)
	v_mul_f32_e32 v2, 0.5, v5
	v_dual_add_f32 v0, v7, v0 :: v_dual_mul_f32 v1, 0.5, v1
	s_wait_loadcnt 0x0
	s_delay_alu instid0(VALU_DEP_3) | instskip(NEXT) | instid1(VALU_DEP_2)
	v_mul_f32_e32 v5, v4, v8
	v_fma_f32 v7, v2, v4, v1
	v_fma_f32 v1, v2, v4, -v1
	s_delay_alu instid0(VALU_DEP_3) | instskip(SKIP_1) | instid1(VALU_DEP_4)
	v_fma_f32 v9, 0.5, v0, v5
	v_fma_f32 v0, v0, 0.5, -v5
	v_fma_f32 v7, -v3, v8, v7
	v_dual_mov_b32 v4, v34 :: v_dual_mov_b32 v5, v35
	s_delay_alu instid0(VALU_DEP_4) | instskip(NEXT) | instid1(VALU_DEP_4)
	v_fmac_f32_e32 v9, v3, v2
	v_fma_f32 v2, -v3, v2, v0
	v_fma_f32 v3, -v3, v8, v1
                                        ; implicit-def: $vgpr0_vgpr1
	ds_store_b32 v38, v9
.LBB0_21:
	s_wait_alu 0xfffe
	s_and_not1_saveexec_b32 s0, s1
	s_cbranch_execz .LBB0_23
; %bb.22:
	s_wait_dscnt 0x0
	v_dual_mov_b32 v7, 0 :: v_dual_add_f32 v8, v0, v1
	v_mov_b32_e32 v4, 0
	v_dual_sub_f32 v2, v0, v1 :: v_dual_mov_b32 v5, 0
	ds_load_b32 v3, v7 offset:1876
	s_wait_dscnt 0x0
	v_xor_b32_e32 v0, 0x80000000, v3
	v_mov_b32_e32 v3, v7
	ds_store_b32 v38, v8
	ds_store_b32 v7, v0 offset:1876
.LBB0_23:
	s_wait_alu 0xfffe
	s_or_b32 exec_lo, exec_lo, s0
	s_wait_dscnt 0x0
	v_lshlrev_b64_e32 v[0:1], 3, v[4:5]
	s_add_nc_u64 s[0:1], s[8:9], 0xe38
	s_wait_alu 0xfffe
	s_delay_alu instid0(VALU_DEP_1) | instskip(SKIP_1) | instid1(VALU_DEP_2)
	v_add_co_u32 v0, s0, s0, v0
	s_wait_alu 0xf1ff
	v_add_co_ci_u32_e64 v1, s0, s1, v1, s0
	s_mov_b32 s1, exec_lo
	s_clause 0x2
	global_load_b64 v[4:5], v[0:1], off offset:416
	global_load_b64 v[8:9], v[0:1], off offset:832
	;; [unrolled: 1-line block ×3, first 2 shown]
	ds_store_b32 v38, v7 offset:4
	ds_store_b64 v6, v[2:3] offset:3744
	ds_load_b64 v[2:3], v38 offset:416
	ds_load_b64 v[12:13], v6 offset:3328
	s_wait_dscnt 0x0
	v_dual_sub_f32 v7, v2, v12 :: v_dual_add_f32 v14, v3, v13
	v_dual_sub_f32 v3, v3, v13 :: v_dual_add_f32 v12, v2, v12
	s_delay_alu instid0(VALU_DEP_2) | instskip(NEXT) | instid1(VALU_DEP_3)
	v_mul_f32_e32 v13, 0.5, v14
	v_mul_f32_e32 v7, 0.5, v7
	s_delay_alu instid0(VALU_DEP_3) | instskip(SKIP_1) | instid1(VALU_DEP_2)
	v_mul_f32_e32 v3, 0.5, v3
	s_wait_loadcnt 0x2
	v_mul_f32_e32 v14, v5, v7
	s_delay_alu instid0(VALU_DEP_2) | instskip(SKIP_1) | instid1(VALU_DEP_3)
	v_fma_f32 v15, v13, v5, v3
	v_fma_f32 v5, v13, v5, -v3
	v_fma_f32 v2, 0.5, v12, v14
	v_fma_f32 v12, v12, 0.5, -v14
	s_delay_alu instid0(VALU_DEP_2) | instskip(SKIP_2) | instid1(VALU_DEP_4)
	v_fmac_f32_e32 v2, v4, v13
	v_fma_f32 v3, -v4, v7, v15
	v_fma_f32 v5, -v4, v7, v5
	;; [unrolled: 1-line block ×3, first 2 shown]
	ds_store_b64 v38, v[2:3] offset:416
	ds_store_b64 v6, v[4:5] offset:3328
	ds_load_b64 v[2:3], v38 offset:832
	ds_load_b64 v[4:5], v6 offset:2912
	s_wait_dscnt 0x0
	v_dual_sub_f32 v7, v2, v4 :: v_dual_add_f32 v12, v3, v5
	v_dual_sub_f32 v3, v3, v5 :: v_dual_add_f32 v4, v2, v4
	s_delay_alu instid0(VALU_DEP_2) | instskip(SKIP_1) | instid1(VALU_DEP_1)
	v_mul_f32_e32 v5, 0.5, v7
	s_wait_loadcnt 0x1
	v_dual_mul_f32 v7, 0.5, v12 :: v_dual_mul_f32 v12, v9, v5
	s_delay_alu instid0(VALU_DEP_1) | instskip(SKIP_1) | instid1(VALU_DEP_2)
	v_fma_f32 v2, 0.5, v4, v12
	v_fma_f32 v4, v4, 0.5, -v12
	v_fmac_f32_e32 v2, v8, v7
	v_mul_f32_e32 v3, 0.5, v3
	s_delay_alu instid0(VALU_DEP_3) | instskip(NEXT) | instid1(VALU_DEP_2)
	v_fma_f32 v4, -v8, v7, v4
	v_fma_f32 v13, v7, v9, v3
	v_fma_f32 v9, v7, v9, -v3
	s_delay_alu instid0(VALU_DEP_2) | instskip(NEXT) | instid1(VALU_DEP_2)
	v_fma_f32 v3, -v8, v5, v13
	v_fma_f32 v5, -v8, v5, v9
	ds_store_b64 v38, v[2:3] offset:832
	ds_store_b64 v6, v[4:5] offset:2912
	ds_load_b64 v[2:3], v38 offset:1248
	ds_load_b64 v[4:5], v6 offset:2496
	s_wait_dscnt 0x0
	v_dual_sub_f32 v7, v2, v4 :: v_dual_add_f32 v8, v3, v5
	v_dual_sub_f32 v3, v3, v5 :: v_dual_add_f32 v4, v2, v4
	s_delay_alu instid0(VALU_DEP_2) | instskip(SKIP_1) | instid1(VALU_DEP_1)
	v_mul_f32_e32 v5, 0.5, v7
	s_wait_loadcnt 0x0
	v_dual_mul_f32 v7, 0.5, v8 :: v_dual_mul_f32 v8, v11, v5
	s_delay_alu instid0(VALU_DEP_1) | instskip(SKIP_1) | instid1(VALU_DEP_2)
	v_fma_f32 v2, 0.5, v4, v8
	v_fma_f32 v4, v4, 0.5, -v8
	v_fmac_f32_e32 v2, v10, v7
	v_mul_f32_e32 v3, 0.5, v3
	s_delay_alu instid0(VALU_DEP_3) | instskip(NEXT) | instid1(VALU_DEP_2)
	v_fma_f32 v4, -v10, v7, v4
	v_fma_f32 v9, v7, v11, v3
	v_fma_f32 v11, v7, v11, -v3
	s_delay_alu instid0(VALU_DEP_2) | instskip(NEXT) | instid1(VALU_DEP_2)
	v_fma_f32 v3, -v10, v5, v9
	v_fma_f32 v5, -v10, v5, v11
	ds_store_b64 v38, v[2:3] offset:1248
	ds_store_b64 v6, v[4:5] offset:2496
	v_cmpx_gt_u32_e32 26, v34
	s_cbranch_execz .LBB0_25
; %bb.24:
	global_load_b64 v[0:1], v[0:1], off offset:1664
	ds_load_b64 v[2:3], v38 offset:1664
	ds_load_b64 v[4:5], v6 offset:2080
	s_wait_dscnt 0x0
	v_dual_sub_f32 v7, v2, v4 :: v_dual_add_f32 v8, v3, v5
	v_dual_sub_f32 v3, v3, v5 :: v_dual_add_f32 v2, v2, v4
	s_delay_alu instid0(VALU_DEP_2) | instskip(NEXT) | instid1(VALU_DEP_3)
	v_mul_f32_e32 v5, 0.5, v7
	v_mul_f32_e32 v7, 0.5, v8
	s_wait_loadcnt 0x0
	s_delay_alu instid0(VALU_DEP_2) | instskip(NEXT) | instid1(VALU_DEP_1)
	v_dual_mul_f32 v3, 0.5, v3 :: v_dual_mul_f32 v4, v1, v5
	v_fma_f32 v8, v7, v1, v3
	v_fma_f32 v3, v7, v1, -v3
	s_delay_alu instid0(VALU_DEP_3) | instskip(SKIP_1) | instid1(VALU_DEP_4)
	v_fma_f32 v1, 0.5, v2, v4
	v_fma_f32 v9, v2, 0.5, -v4
	v_fma_f32 v2, -v0, v5, v8
	s_delay_alu instid0(VALU_DEP_4) | instskip(NEXT) | instid1(VALU_DEP_4)
	v_fma_f32 v4, -v0, v5, v3
	v_fmac_f32_e32 v1, v0, v7
	s_delay_alu instid0(VALU_DEP_4)
	v_fma_f32 v3, -v0, v7, v9
	ds_store_b64 v38, v[1:2] offset:1664
	ds_store_b64 v6, v[3:4] offset:2080
.LBB0_25:
	s_wait_alu 0xfffe
	s_or_b32 exec_lo, exec_lo, s1
	global_wb scope:SCOPE_SE
	s_wait_dscnt 0x0
	s_barrier_signal -1
	s_barrier_wait -1
	global_inv scope:SCOPE_SE
	s_and_saveexec_b32 s0, vcc_lo
	s_cbranch_execz .LBB0_28
; %bb.26:
	v_mul_lo_u32 v2, s3, v36
	v_mul_lo_u32 v3, s2, v37
	v_mad_co_u64_u32 v[0:1], null, s2, v36, 0
	v_dual_mov_b32 v35, 0 :: v_dual_add_nc_u32 v12, 52, v34
	v_lshlrev_b64_e32 v[10:11], 3, v[32:33]
	v_lshl_add_u32 v20, v34, 3, 0
	s_delay_alu instid0(VALU_DEP_3)
	v_dual_mov_b32 v13, v35 :: v_dual_add_nc_u32 v14, 0x68, v34
	v_add3_u32 v1, v1, v3, v2
	v_lshlrev_b64_e32 v[16:17], 3, v[34:35]
	v_mov_b32_e32 v15, v35
	ds_load_2addr_b64 v[2:5], v20 offset1:52
	ds_load_2addr_b64 v[6:9], v20 offset0:104 offset1:156
	v_lshlrev_b64_e32 v[0:1], 3, v[0:1]
	v_lshlrev_b64_e32 v[12:13], 3, v[12:13]
	v_mov_b32_e32 v19, v35
	v_add_nc_u32_e32 v21, 0x400, v20
	v_add_nc_u32_e32 v18, 0xd0, v34
	v_add_co_u32 v0, vcc_lo, s6, v0
	s_wait_alu 0xfffd
	v_add_co_ci_u32_e32 v1, vcc_lo, s7, v1, vcc_lo
	s_delay_alu instid0(VALU_DEP_2) | instskip(SKIP_1) | instid1(VALU_DEP_2)
	v_add_co_u32 v0, vcc_lo, v0, v10
	s_wait_alu 0xfffd
	v_add_co_ci_u32_e32 v1, vcc_lo, v1, v11, vcc_lo
	v_lshlrev_b64_e32 v[10:11], 3, v[14:15]
	s_delay_alu instid0(VALU_DEP_3) | instskip(SKIP_1) | instid1(VALU_DEP_3)
	v_add_co_u32 v14, vcc_lo, v0, v16
	s_wait_alu 0xfffd
	v_add_co_ci_u32_e32 v15, vcc_lo, v1, v17, vcc_lo
	v_dual_mov_b32 v17, v35 :: v_dual_add_nc_u32 v16, 0x9c, v34
	v_add_co_u32 v12, vcc_lo, v0, v12
	s_wait_alu 0xfffd
	v_add_co_ci_u32_e32 v13, vcc_lo, v1, v13, vcc_lo
	s_delay_alu instid0(VALU_DEP_3) | instskip(SKIP_3) | instid1(VALU_DEP_3)
	v_lshlrev_b64_e32 v[16:17], 3, v[16:17]
	v_add_co_u32 v10, vcc_lo, v0, v10
	s_wait_alu 0xfffd
	v_add_co_ci_u32_e32 v11, vcc_lo, v1, v11, vcc_lo
	v_add_co_u32 v16, vcc_lo, v0, v16
	s_wait_alu 0xfffd
	v_add_co_ci_u32_e32 v17, vcc_lo, v1, v17, vcc_lo
	s_wait_dscnt 0x1
	s_clause 0x1
	global_store_b64 v[14:15], v[2:3], off
	global_store_b64 v[12:13], v[4:5], off
	s_wait_dscnt 0x0
	s_clause 0x1
	global_store_b64 v[10:11], v[6:7], off
	global_store_b64 v[16:17], v[8:9], off
	v_dual_mov_b32 v7, v35 :: v_dual_add_nc_u32 v6, 0x104, v34
	v_add_nc_u32_e32 v12, 0x138, v34
	v_lshlrev_b64_e32 v[18:19], 3, v[18:19]
	v_dual_mov_b32 v13, v35 :: v_dual_add_nc_u32 v8, 0x800, v20
	s_delay_alu instid0(VALU_DEP_4) | instskip(SKIP_1) | instid1(VALU_DEP_4)
	v_lshlrev_b64_e32 v[6:7], 3, v[6:7]
	v_dual_mov_b32 v15, v35 :: v_dual_add_nc_u32 v14, 0x16c, v34
	v_add_co_u32 v10, vcc_lo, v0, v18
	s_wait_alu 0xfffd
	v_add_co_ci_u32_e32 v11, vcc_lo, v1, v19, vcc_lo
	ds_load_2addr_b64 v[2:5], v21 offset0:80 offset1:132
	v_add_co_u32 v16, vcc_lo, v0, v6
	v_lshlrev_b64_e32 v[12:13], 3, v[12:13]
	v_dual_mov_b32 v19, v35 :: v_dual_add_nc_u32 v18, 0x1a0, v34
	s_wait_alu 0xfffd
	v_add_co_ci_u32_e32 v17, vcc_lo, v1, v7, vcc_lo
	ds_load_2addr_b64 v[6:9], v8 offset0:56 offset1:108
	v_lshlrev_b64_e32 v[14:15], 3, v[14:15]
	ds_load_b64 v[20:21], v20 offset:3328
	v_add_co_u32 v12, vcc_lo, v0, v12
	v_lshlrev_b64_e32 v[18:19], 3, v[18:19]
	s_wait_alu 0xfffd
	v_add_co_ci_u32_e32 v13, vcc_lo, v1, v13, vcc_lo
	v_add_co_u32 v14, vcc_lo, v0, v14
	s_wait_alu 0xfffd
	v_add_co_ci_u32_e32 v15, vcc_lo, v1, v15, vcc_lo
	v_add_co_u32 v18, vcc_lo, v0, v18
	s_wait_alu 0xfffd
	v_add_co_ci_u32_e32 v19, vcc_lo, v1, v19, vcc_lo
	v_cmp_eq_u32_e32 vcc_lo, 51, v34
	s_wait_dscnt 0x2
	s_clause 0x1
	global_store_b64 v[10:11], v[2:3], off
	global_store_b64 v[16:17], v[4:5], off
	s_wait_dscnt 0x1
	s_clause 0x1
	global_store_b64 v[12:13], v[6:7], off
	global_store_b64 v[14:15], v[8:9], off
	s_wait_dscnt 0x0
	global_store_b64 v[18:19], v[20:21], off
	s_and_b32 exec_lo, exec_lo, vcc_lo
	s_cbranch_execz .LBB0_28
; %bb.27:
	ds_load_b64 v[2:3], v35 offset:3744
	s_wait_dscnt 0x0
	global_store_b64 v[0:1], v[2:3], off offset:3744
.LBB0_28:
	s_nop 0
	s_sendmsg sendmsg(MSG_DEALLOC_VGPRS)
	s_endpgm
	.section	.rodata,"a",@progbits
	.p2align	6, 0x0
	.amdhsa_kernel fft_rtc_back_len468_factors_13_9_4_wgs_52_tpt_52_sp_op_CI_CI_unitstride_sbrr_R2C_dirReg
		.amdhsa_group_segment_fixed_size 0
		.amdhsa_private_segment_fixed_size 0
		.amdhsa_kernarg_size 104
		.amdhsa_user_sgpr_count 2
		.amdhsa_user_sgpr_dispatch_ptr 0
		.amdhsa_user_sgpr_queue_ptr 0
		.amdhsa_user_sgpr_kernarg_segment_ptr 1
		.amdhsa_user_sgpr_dispatch_id 0
		.amdhsa_user_sgpr_private_segment_size 0
		.amdhsa_wavefront_size32 1
		.amdhsa_uses_dynamic_stack 0
		.amdhsa_enable_private_segment 0
		.amdhsa_system_sgpr_workgroup_id_x 1
		.amdhsa_system_sgpr_workgroup_id_y 0
		.amdhsa_system_sgpr_workgroup_id_z 0
		.amdhsa_system_sgpr_workgroup_info 0
		.amdhsa_system_vgpr_workitem_id 0
		.amdhsa_next_free_vgpr 128
		.amdhsa_next_free_sgpr 39
		.amdhsa_reserve_vcc 1
		.amdhsa_float_round_mode_32 0
		.amdhsa_float_round_mode_16_64 0
		.amdhsa_float_denorm_mode_32 3
		.amdhsa_float_denorm_mode_16_64 3
		.amdhsa_fp16_overflow 0
		.amdhsa_workgroup_processor_mode 1
		.amdhsa_memory_ordered 1
		.amdhsa_forward_progress 0
		.amdhsa_round_robin_scheduling 0
		.amdhsa_exception_fp_ieee_invalid_op 0
		.amdhsa_exception_fp_denorm_src 0
		.amdhsa_exception_fp_ieee_div_zero 0
		.amdhsa_exception_fp_ieee_overflow 0
		.amdhsa_exception_fp_ieee_underflow 0
		.amdhsa_exception_fp_ieee_inexact 0
		.amdhsa_exception_int_div_zero 0
	.end_amdhsa_kernel
	.text
.Lfunc_end0:
	.size	fft_rtc_back_len468_factors_13_9_4_wgs_52_tpt_52_sp_op_CI_CI_unitstride_sbrr_R2C_dirReg, .Lfunc_end0-fft_rtc_back_len468_factors_13_9_4_wgs_52_tpt_52_sp_op_CI_CI_unitstride_sbrr_R2C_dirReg
                                        ; -- End function
	.section	.AMDGPU.csdata,"",@progbits
; Kernel info:
; codeLenInByte = 8740
; NumSgprs: 41
; NumVgprs: 128
; ScratchSize: 0
; MemoryBound: 0
; FloatMode: 240
; IeeeMode: 1
; LDSByteSize: 0 bytes/workgroup (compile time only)
; SGPRBlocks: 5
; VGPRBlocks: 15
; NumSGPRsForWavesPerEU: 41
; NumVGPRsForWavesPerEU: 128
; Occupancy: 10
; WaveLimiterHint : 1
; COMPUTE_PGM_RSRC2:SCRATCH_EN: 0
; COMPUTE_PGM_RSRC2:USER_SGPR: 2
; COMPUTE_PGM_RSRC2:TRAP_HANDLER: 0
; COMPUTE_PGM_RSRC2:TGID_X_EN: 1
; COMPUTE_PGM_RSRC2:TGID_Y_EN: 0
; COMPUTE_PGM_RSRC2:TGID_Z_EN: 0
; COMPUTE_PGM_RSRC2:TIDIG_COMP_CNT: 0
	.text
	.p2alignl 7, 3214868480
	.fill 96, 4, 3214868480
	.type	__hip_cuid_fc9834a540418259,@object ; @__hip_cuid_fc9834a540418259
	.section	.bss,"aw",@nobits
	.globl	__hip_cuid_fc9834a540418259
__hip_cuid_fc9834a540418259:
	.byte	0                               ; 0x0
	.size	__hip_cuid_fc9834a540418259, 1

	.ident	"AMD clang version 19.0.0git (https://github.com/RadeonOpenCompute/llvm-project roc-6.4.0 25133 c7fe45cf4b819c5991fe208aaa96edf142730f1d)"
	.section	".note.GNU-stack","",@progbits
	.addrsig
	.addrsig_sym __hip_cuid_fc9834a540418259
	.amdgpu_metadata
---
amdhsa.kernels:
  - .args:
      - .actual_access:  read_only
        .address_space:  global
        .offset:         0
        .size:           8
        .value_kind:     global_buffer
      - .offset:         8
        .size:           8
        .value_kind:     by_value
      - .actual_access:  read_only
        .address_space:  global
        .offset:         16
        .size:           8
        .value_kind:     global_buffer
      - .actual_access:  read_only
        .address_space:  global
        .offset:         24
        .size:           8
        .value_kind:     global_buffer
      - .actual_access:  read_only
        .address_space:  global
        .offset:         32
        .size:           8
        .value_kind:     global_buffer
      - .offset:         40
        .size:           8
        .value_kind:     by_value
      - .actual_access:  read_only
        .address_space:  global
        .offset:         48
        .size:           8
        .value_kind:     global_buffer
      - .actual_access:  read_only
        .address_space:  global
        .offset:         56
        .size:           8
        .value_kind:     global_buffer
      - .offset:         64
        .size:           4
        .value_kind:     by_value
      - .actual_access:  read_only
        .address_space:  global
        .offset:         72
        .size:           8
        .value_kind:     global_buffer
      - .actual_access:  read_only
        .address_space:  global
        .offset:         80
        .size:           8
        .value_kind:     global_buffer
      - .actual_access:  read_only
        .address_space:  global
        .offset:         88
        .size:           8
        .value_kind:     global_buffer
      - .actual_access:  write_only
        .address_space:  global
        .offset:         96
        .size:           8
        .value_kind:     global_buffer
    .group_segment_fixed_size: 0
    .kernarg_segment_align: 8
    .kernarg_segment_size: 104
    .language:       OpenCL C
    .language_version:
      - 2
      - 0
    .max_flat_workgroup_size: 52
    .name:           fft_rtc_back_len468_factors_13_9_4_wgs_52_tpt_52_sp_op_CI_CI_unitstride_sbrr_R2C_dirReg
    .private_segment_fixed_size: 0
    .sgpr_count:     41
    .sgpr_spill_count: 0
    .symbol:         fft_rtc_back_len468_factors_13_9_4_wgs_52_tpt_52_sp_op_CI_CI_unitstride_sbrr_R2C_dirReg.kd
    .uniform_work_group_size: 1
    .uses_dynamic_stack: false
    .vgpr_count:     128
    .vgpr_spill_count: 0
    .wavefront_size: 32
    .workgroup_processor_mode: 1
amdhsa.target:   amdgcn-amd-amdhsa--gfx1201
amdhsa.version:
  - 1
  - 2
...

	.end_amdgpu_metadata
